;; amdgpu-corpus repo=ROCm/rocm-examples kind=compiled arch=gfx1100 opt=O3
	.text
	.amdgcn_target "amdgcn-amd-amdhsa--gfx1100"
	.amdhsa_code_object_version 6
	.section	.text._Z14rocrand_kernelIN14rocrand_device13xorwow_engineEEvPjmyy,"axG",@progbits,_Z14rocrand_kernelIN14rocrand_device13xorwow_engineEEvPjmyy,comdat
	.protected	_Z14rocrand_kernelIN14rocrand_device13xorwow_engineEEvPjmyy ; -- Begin function _Z14rocrand_kernelIN14rocrand_device13xorwow_engineEEvPjmyy
	.globl	_Z14rocrand_kernelIN14rocrand_device13xorwow_engineEEvPjmyy
	.p2align	8
	.type	_Z14rocrand_kernelIN14rocrand_device13xorwow_engineEEvPjmyy,@function
_Z14rocrand_kernelIN14rocrand_device13xorwow_engineEEvPjmyy: ; @_Z14rocrand_kernelIN14rocrand_device13xorwow_engineEEvPjmyy
; %bb.0:
	s_load_b64 s[0:1], s[0:1], 0x4
	s_clause 0x1
	s_load_b32 s13, s[2:3], 0x2c
	s_load_b256 s[4:11], s[2:3], 0x0
	v_bfe_u32 v1, v0, 10, 10
	v_and_b32_e32 v2, 0x3ff, v0
	v_bfe_u32 v3, v0, 20, 10
	s_load_b32 s12, s[2:3], 0x20
	s_mov_b32 s35, 0
	s_mov_b32 s34, exec_lo
	s_waitcnt lgkmcnt(0)
	s_lshr_b32 s0, s0, 16
	s_and_b32 s13, s13, 0xffff
	s_mul_i32 s0, s0, s1
	v_mul_u32_u24_e32 v4, s1, v1
	v_mad_u64_u32 v[0:1], null, s15, s13, v[2:3]
	v_mov_b32_e32 v1, 0
	v_mul_lo_u32 v5, s0, v2
	s_xor_b32 s14, s8, 0x2c7f967f
	s_xor_b32 s33, s9, 0xa03697cb
	s_mul_i32 s14, s14, 0x493c4aa1
	s_mul_i32 s33, s33, 0x7b99840d
	s_add_i32 s2, s14, 0x75bcd15
	s_xor_b32 s3, s14, 0x159a55e5
	s_add_i32 s8, s33, 0x1f123bb5
	v_add3_u32 v3, v5, v4, v3
	s_xor_b32 s9, s33, 0x5491333
	s_add_i32 s16, s14, 0x583f19
	v_dual_mov_b32 v8, s3 :: v_dual_mov_b32 v7, s2
	s_delay_alu instid0(VALU_DEP_2)
	v_mul_lo_u32 v10, v3, 48
	v_dual_mov_b32 v13, s9 :: v_dual_mov_b32 v12, s8
	v_dual_mov_b32 v9, s16 :: v_dual_mov_b32 v4, s3
	;; [unrolled: 1-line block ×3, first 2 shown]
	v_mov_b32_e32 v5, s8
	v_add_nc_u32_e32 v11, 24, v10
	ds_store_2addr_b64 v10, v[7:8], v[12:13] offset0:3 offset1:4
	ds_store_b32 v10, v9 offset:40
	v_cmpx_ne_u32_e32 0, v0
	s_cbranch_execz .LBB0_10
; %bb.1:
	v_dual_mov_b32 v3, s2 :: v_dual_mov_b32 v8, v1
	v_dual_mov_b32 v9, s16 :: v_dual_mov_b32 v6, s9
	;; [unrolled: 1-line block ×3, first 2 shown]
	v_mov_b32_e32 v7, v0
	s_getpc_b64 s[0:1]
	s_add_u32 s0, s0, _ZL31d_xorwow_sequence_jump_matrices@rel32@lo+4
	s_addc_u32 s1, s1, _ZL31d_xorwow_sequence_jump_matrices@rel32@hi+12
	s_branch .LBB0_3
.LBB0_2:                                ;   in Loop: Header=BB0_3 Depth=1
	s_or_b32 exec_lo, exec_lo, s8
	v_lshrrev_b64 v[12:13], 2, v[7:8]
	v_cmp_gt_u64_e32 vcc_lo, 4, v[7:8]
	s_add_u32 s0, s0, 0xc80
	s_addc_u32 s1, s1, 0
	s_delay_alu instid0(VALU_DEP_2) | instskip(SKIP_1) | instid1(SALU_CYCLE_1)
	v_dual_mov_b32 v7, v12 :: v_dual_mov_b32 v8, v13
	s_or_b32 s35, vcc_lo, s35
	s_and_not1_b32 exec_lo, exec_lo, s35
	s_cbranch_execz .LBB0_9
.LBB0_3:                                ; =>This Loop Header: Depth=1
                                        ;     Child Loop BB0_5 Depth 2
                                        ;       Child Loop BB0_6 Depth 3
	s_delay_alu instid0(VALU_DEP_1) | instskip(SKIP_1) | instid1(VALU_DEP_1)
	v_and_b32_e32 v12, 3, v7
	s_mov_b32 s8, exec_lo
	v_cmpx_ne_u32_e32 0, v12
	s_cbranch_execz .LBB0_2
; %bb.4:                                ;   in Loop: Header=BB0_3 Depth=1
	s_mov_b32 s9, 0
	s_mov_b32 s36, 0
.LBB0_5:                                ;   Parent Loop BB0_3 Depth=1
                                        ; =>  This Loop Header: Depth=2
                                        ;       Child Loop BB0_6 Depth 3
	v_dual_mov_b32 v3, 0 :: v_dual_mov_b32 v4, 0
	v_dual_mov_b32 v5, 0 :: v_dual_mov_b32 v6, 0
	v_mov_b32_e32 v9, 0
	s_mov_b32 s37, 3
	s_mov_b64 s[2:3], s[0:1]
.LBB0_6:                                ;   Parent Loop BB0_3 Depth=1
                                        ;     Parent Loop BB0_5 Depth=2
                                        ; =>    This Inner Loop Header: Depth=3
	s_add_i32 s38, s37, -3
	s_load_b512 s[16:31], s[2:3], 0x0
	s_and_b32 s45, s38, 28
	s_lshr_b32 s38, s38, 3
	s_load_b128 s[40:43], s[2:3], 0x40
	s_and_b32 s38, s38, 0x1ffffffc
	s_add_i32 s39, s37, -2
	v_add_nc_u32_e32 v13, s38, v11
	s_and_b32 s39, s39, 29
	s_add_i32 s44, s37, -1
	s_delay_alu instid0(SALU_CYCLE_1)
	s_and_b32 s44, s44, 30
	ds_load_b32 v13, v13
	s_waitcnt lgkmcnt(0)
	v_lshrrev_b32_e32 v14, s45, v13
	v_lshrrev_b32_e32 v15, s39, v13
	;; [unrolled: 1-line block ×4, first 2 shown]
	s_add_i32 s37, s37, 4
	v_bfe_i32 v14, v14, 0, 1
	v_bfe_i32 v15, v15, 0, 1
	;; [unrolled: 1-line block ×4, first 2 shown]
	s_add_u32 s2, s2, 0x50
	v_and_b32_e32 v17, s16, v14
	v_and_b32_e32 v18, s17, v14
	;; [unrolled: 1-line block ×20, first 2 shown]
	v_xor3_b32 v3, v17, v3, v21
	v_xor3_b32 v4, v18, v4, v22
	;; [unrolled: 1-line block ×10, first 2 shown]
	s_addc_u32 s3, s3, 0
	s_cmpk_lg_i32 s37, 0xa3
	s_cbranch_scc1 .LBB0_6
; %bb.7:                                ;   in Loop: Header=BB0_5 Depth=2
	s_add_i32 s36, s36, 1
	ds_store_2addr_b64 v10, v[3:4], v[5:6] offset0:3 offset1:4
	ds_store_b32 v10, v9 offset:40
	v_cmp_eq_u32_e32 vcc_lo, s36, v12
	s_or_b32 s9, vcc_lo, s9
	s_delay_alu instid0(SALU_CYCLE_1)
	s_and_not1_b32 exec_lo, exec_lo, s9
	s_cbranch_execnz .LBB0_5
; %bb.8:                                ;   in Loop: Header=BB0_3 Depth=1
	s_or_b32 exec_lo, exec_lo, s9
	s_branch .LBB0_2
.LBB0_9:
	s_or_b32 exec_lo, exec_lo, s35
.LBB0_10:
	s_delay_alu instid0(SALU_CYCLE_1)
	s_or_b32 exec_lo, exec_lo, s34
	s_cmp_eq_u64 s[10:11], 0
	s_cbranch_scc1 .LBB0_18
; %bb.11:
	s_mov_b64 s[2:3], s[10:11]
	s_getpc_b64 s[0:1]
	s_add_u32 s0, s0, _ZL22d_xorwow_jump_matrices@rel32@lo+4
	s_addc_u32 s1, s1, _ZL22d_xorwow_jump_matrices@rel32@hi+12
	s_branch .LBB0_13
.LBB0_12:                               ;   in Loop: Header=BB0_13 Depth=1
	v_cmp_lt_u64_e64 s8, s[2:3], 4
	s_lshr_b64 s[2:3], s[2:3], 2
	s_add_u32 s0, s0, 0xc80
	s_addc_u32 s1, s1, 0
	s_delay_alu instid0(VALU_DEP_1)
	s_and_b32 vcc_lo, exec_lo, s8
	s_cbranch_vccnz .LBB0_18
.LBB0_13:                               ; =>This Loop Header: Depth=1
                                        ;     Child Loop BB0_15 Depth 2
                                        ;       Child Loop BB0_16 Depth 3
	s_and_b32 s11, s2, 3
	s_delay_alu instid0(SALU_CYCLE_1)
	s_cmp_eq_u32 s11, 0
	s_cbranch_scc1 .LBB0_12
; %bb.14:                               ;   in Loop: Header=BB0_13 Depth=1
	s_mov_b32 s34, 0
.LBB0_15:                               ;   Parent Loop BB0_13 Depth=1
                                        ; =>  This Loop Header: Depth=2
                                        ;       Child Loop BB0_16 Depth 3
	v_dual_mov_b32 v3, 0 :: v_dual_mov_b32 v4, 0
	v_dual_mov_b32 v5, 0 :: v_dual_mov_b32 v6, 0
	v_mov_b32_e32 v9, 0
	s_mov_b32 s35, 3
	s_mov_b64 s[8:9], s[0:1]
.LBB0_16:                               ;   Parent Loop BB0_13 Depth=1
                                        ;     Parent Loop BB0_15 Depth=2
                                        ; =>    This Inner Loop Header: Depth=3
	s_add_i32 s40, s35, -3
	s_load_b512 s[16:31], s[8:9], 0x0
	s_and_b32 s43, s40, 28
	s_lshr_b32 s40, s40, 3
	s_load_b128 s[36:39], s[8:9], 0x40
	s_and_b32 s40, s40, 0x1ffffffc
	s_add_i32 s41, s35, -2
	v_add_nc_u32_e32 v7, s40, v11
	s_and_b32 s41, s41, 29
	s_add_i32 s42, s35, -1
	s_delay_alu instid0(SALU_CYCLE_1)
	s_and_b32 s42, s42, 30
	ds_load_b32 v7, v7
	s_waitcnt lgkmcnt(0)
	v_lshrrev_b32_e32 v8, s43, v7
	v_lshrrev_b32_e32 v12, s41, v7
	;; [unrolled: 1-line block ×4, first 2 shown]
	s_add_i32 s35, s35, 4
	v_bfe_i32 v8, v8, 0, 1
	v_bfe_i32 v12, v12, 0, 1
	;; [unrolled: 1-line block ×4, first 2 shown]
	s_add_u32 s8, s8, 0x50
	v_and_b32_e32 v14, s16, v8
	v_and_b32_e32 v15, s17, v8
	;; [unrolled: 1-line block ×20, first 2 shown]
	v_xor3_b32 v3, v14, v3, v18
	v_xor3_b32 v4, v15, v4, v19
	;; [unrolled: 1-line block ×10, first 2 shown]
	s_addc_u32 s9, s9, 0
	s_cmpk_lg_i32 s35, 0xa3
	s_cbranch_scc1 .LBB0_16
; %bb.17:                               ;   in Loop: Header=BB0_15 Depth=2
	s_add_i32 s34, s34, 1
	ds_store_2addr_b64 v10, v[3:4], v[5:6] offset0:3 offset1:4
	ds_store_b32 v10, v9 offset:40
	s_cmp_eq_u32 s34, s11
	s_cbranch_scc0 .LBB0_15
	s_branch .LBB0_12
.LBB0_18:
	s_mov_b32 s0, exec_lo
	v_cmpx_gt_u64_e64 s[6:7], v[0:1]
	s_cbranch_execz .LBB0_21
; %bb.19:
	s_add_i32 s15, s15, s12
	s_mul_i32 s0, s10, 0x587c5
	v_mad_u64_u32 v[7:8], null, s15, s13, v[2:3]
	s_add_i32 s1, s33, s14
	v_mov_b32_e32 v8, 0
	s_add_i32 s0, s1, s0
	s_mul_i32 s12, s12, s13
	s_add_i32 s1, s0, 0x6a788e
	s_mov_b32 s2, 0
	.p2align	6
.LBB0_20:                               ; =>This Inner Loop Header: Depth=1
	v_lshrrev_b32_e32 v2, 2, v3
	v_lshlrev_b64 v[10:11], 2, v[0:1]
	v_cmp_le_u64_e32 vcc_lo, s[6:7], v[7:8]
	v_dual_mov_b32 v0, v7 :: v_dual_mov_b32 v1, v8
	s_delay_alu instid0(VALU_DEP_4) | instskip(SKIP_3) | instid1(VALU_DEP_4)
	v_xor_b32_e32 v2, v2, v3
	v_lshlrev_b32_e32 v3, 4, v9
	v_add_nc_u32_e32 v7, s12, v7
	v_add_co_u32 v10, s0, s4, v10
	v_lshlrev_b32_e32 v12, 1, v2
	v_add_co_ci_u32_e64 v11, s0, s5, v11, s0
	s_delay_alu instid0(VALU_DEP_2) | instskip(SKIP_2) | instid1(VALU_DEP_3)
	v_xor_b32_e32 v12, v3, v12
	v_dual_mov_b32 v3, v4 :: v_dual_mov_b32 v4, v5
	v_dual_mov_b32 v5, v6 :: v_dual_mov_b32 v6, v9
	v_xor3_b32 v9, v12, v9, v2
	s_delay_alu instid0(VALU_DEP_1)
	v_add_nc_u32_e32 v2, s1, v9
	s_add_i32 s1, s1, 0x587c5
	s_or_b32 s2, vcc_lo, s2
	global_store_b32 v[10:11], v2, off
	s_and_not1_b32 exec_lo, exec_lo, s2
	s_cbranch_execnz .LBB0_20
.LBB0_21:
	s_nop 0
	s_sendmsg sendmsg(MSG_DEALLOC_VGPRS)
	s_endpgm
	.section	.rodata,"a",@progbits
	.p2align	6, 0x0
	.amdhsa_kernel _Z14rocrand_kernelIN14rocrand_device13xorwow_engineEEvPjmyy
		.amdhsa_group_segment_fixed_size 49152
		.amdhsa_private_segment_fixed_size 0
		.amdhsa_kernarg_size 288
		.amdhsa_user_sgpr_count 15
		.amdhsa_user_sgpr_dispatch_ptr 1
		.amdhsa_user_sgpr_queue_ptr 0
		.amdhsa_user_sgpr_kernarg_segment_ptr 1
		.amdhsa_user_sgpr_dispatch_id 0
		.amdhsa_user_sgpr_private_segment_size 0
		.amdhsa_wavefront_size32 1
		.amdhsa_uses_dynamic_stack 0
		.amdhsa_enable_private_segment 0
		.amdhsa_system_sgpr_workgroup_id_x 1
		.amdhsa_system_sgpr_workgroup_id_y 0
		.amdhsa_system_sgpr_workgroup_id_z 0
		.amdhsa_system_sgpr_workgroup_info 0
		.amdhsa_system_vgpr_workitem_id 2
		.amdhsa_next_free_vgpr 33
		.amdhsa_next_free_sgpr 46
		.amdhsa_reserve_vcc 1
		.amdhsa_float_round_mode_32 0
		.amdhsa_float_round_mode_16_64 0
		.amdhsa_float_denorm_mode_32 3
		.amdhsa_float_denorm_mode_16_64 3
		.amdhsa_dx10_clamp 1
		.amdhsa_ieee_mode 1
		.amdhsa_fp16_overflow 0
		.amdhsa_workgroup_processor_mode 1
		.amdhsa_memory_ordered 1
		.amdhsa_forward_progress 0
		.amdhsa_shared_vgpr_count 0
		.amdhsa_exception_fp_ieee_invalid_op 0
		.amdhsa_exception_fp_denorm_src 0
		.amdhsa_exception_fp_ieee_div_zero 0
		.amdhsa_exception_fp_ieee_overflow 0
		.amdhsa_exception_fp_ieee_underflow 0
		.amdhsa_exception_fp_ieee_inexact 0
		.amdhsa_exception_int_div_zero 0
	.end_amdhsa_kernel
	.section	.text._Z14rocrand_kernelIN14rocrand_device13xorwow_engineEEvPjmyy,"axG",@progbits,_Z14rocrand_kernelIN14rocrand_device13xorwow_engineEEvPjmyy,comdat
.Lfunc_end0:
	.size	_Z14rocrand_kernelIN14rocrand_device13xorwow_engineEEvPjmyy, .Lfunc_end0-_Z14rocrand_kernelIN14rocrand_device13xorwow_engineEEvPjmyy
                                        ; -- End function
	.section	.AMDGPU.csdata,"",@progbits
; Kernel info:
; codeLenInByte = 1452
; NumSgprs: 48
; NumVgprs: 33
; ScratchSize: 0
; MemoryBound: 0
; FloatMode: 240
; IeeeMode: 1
; LDSByteSize: 49152 bytes/workgroup (compile time only)
; SGPRBlocks: 5
; VGPRBlocks: 4
; NumSGPRsForWavesPerEU: 48
; NumVGPRsForWavesPerEU: 33
; Occupancy: 16
; WaveLimiterHint : 0
; COMPUTE_PGM_RSRC2:SCRATCH_EN: 0
; COMPUTE_PGM_RSRC2:USER_SGPR: 15
; COMPUTE_PGM_RSRC2:TRAP_HANDLER: 0
; COMPUTE_PGM_RSRC2:TGID_X_EN: 1
; COMPUTE_PGM_RSRC2:TGID_Y_EN: 0
; COMPUTE_PGM_RSRC2:TGID_Z_EN: 0
; COMPUTE_PGM_RSRC2:TIDIG_COMP_CNT: 2
	.section	.text._Z21mtgp32_rocrand_kernelIN14rocrand_device13mtgp32_engineEEvPT_Pjm,"axG",@progbits,_Z21mtgp32_rocrand_kernelIN14rocrand_device13mtgp32_engineEEvPT_Pjm,comdat
	.protected	_Z21mtgp32_rocrand_kernelIN14rocrand_device13mtgp32_engineEEvPT_Pjm ; -- Begin function _Z21mtgp32_rocrand_kernelIN14rocrand_device13mtgp32_engineEEvPT_Pjm
	.globl	_Z21mtgp32_rocrand_kernelIN14rocrand_device13mtgp32_engineEEvPT_Pjm
	.p2align	8
	.type	_Z21mtgp32_rocrand_kernelIN14rocrand_device13mtgp32_engineEEvPT_Pjm,@function
_Z21mtgp32_rocrand_kernelIN14rocrand_device13mtgp32_engineEEvPT_Pjm: ; @_Z21mtgp32_rocrand_kernelIN14rocrand_device13mtgp32_engineEEvPT_Pjm
; %bb.0:
	s_clause 0x3
	s_load_b32 s2, s[0:1], 0x24
	s_load_b128 s[4:7], s[0:1], 0x0
	s_load_b32 s13, s[0:1], 0x18
	s_load_b64 s[8:9], s[0:1], 0x10
	v_lshlrev_b32_e32 v9, 2, v0
	s_mul_i32 s1, s15, 0x10d8
	s_mul_hi_u32 s0, s15, 0x10d8
	v_mov_b32_e32 v6, v0
	s_waitcnt lgkmcnt(0)
	s_and_b32 s3, s2, 0xffff
	s_delay_alu instid0(SALU_CYCLE_1) | instskip(SKIP_3) | instid1(VALU_DEP_1)
	s_lshl_b32 s12, s3, 2
	s_add_u32 s1, s4, s1
	s_addc_u32 s0, s5, s0
	v_add_co_u32 v1, s1, s1, v9
	v_add_co_ci_u32_e64 v2, null, s0, 0, s1
	s_mov_b32 s1, 0
	s_delay_alu instid0(VALU_DEP_2) | instskip(NEXT) | instid1(VALU_DEP_2)
	v_add_co_u32 v1, vcc_lo, v1, 8
	v_add_co_ci_u32_e32 v2, vcc_lo, 0, v2, vcc_lo
	s_delay_alu instid0(VALU_DEP_1) | instskip(NEXT) | instid1(VALU_DEP_3)
	v_mov_b32_e32 v4, v2
	v_dual_mov_b32 v3, v1 :: v_dual_add_nc_u32 v10, 8, v9
	s_delay_alu instid0(VALU_DEP_1)
	v_mov_b32_e32 v5, v10
.LBB1_1:                                ; =>This Inner Loop Header: Depth=1
	global_load_b32 v7, v[3:4], off
	v_add_nc_u32_e32 v6, s3, v6
	v_add_co_u32 v3, vcc_lo, v3, s12
	v_add_co_ci_u32_e32 v4, vcc_lo, 0, v4, vcc_lo
	s_delay_alu instid0(VALU_DEP_3) | instskip(NEXT) | instid1(VALU_DEP_1)
	v_cmp_lt_u32_e64 s0, 0x3ff, v6
	s_or_b32 s1, s0, s1
	s_waitcnt vmcnt(0)
	ds_store_b32 v5, v7
	v_add_nc_u32_e32 v5, s12, v5
	s_and_not1_b32 exec_lo, exec_lo, s1
	s_cbranch_execnz .LBB1_1
; %bb.2:
	s_or_b32 exec_lo, exec_lo, s1
	s_mul_i32 s1, s15, 0x10d8
	v_cmp_eq_u32_e64 s0, 0, v0
	s_mul_hi_u32 s2, s15, 0x10d8
	s_add_u32 s4, s4, s1
	s_addc_u32 s5, s5, s2
	s_delay_alu instid0(VALU_DEP_1)
	s_and_saveexec_b32 s1, s0
	s_cbranch_execz .LBB1_4
; %bb.3:
	s_clause 0x3
	s_load_b64 s[10:11], s[4:5], 0x0
	s_load_b32 s2, s[4:5], 0x1008
	s_load_b64 s[16:17], s[4:5], 0x108c
	s_load_b32 s14, s[4:5], 0x10d4
	v_dual_mov_b32 v5, 0 :: v_dual_mov_b32 v6, 0x108c
	v_add_nc_u32_e64 v7, 0x1000, 0
	s_waitcnt lgkmcnt(0)
	v_dual_mov_b32 v3, s10 :: v_dual_mov_b32 v4, s11
	v_dual_mov_b32 v8, s2 :: v_dual_mov_b32 v11, s16
	;; [unrolled: 1-line block ×3, first 2 shown]
	ds_store_b64 v5, v[3:4]
	ds_store_2addr_b32 v6, v11, v12 offset1:1
	ds_store_2addr_b32 v7, v8, v13 offset0:2 offset1:53
.LBB1_4:
	s_or_b32 exec_lo, exec_lo, s1
	v_cmp_gt_u32_e64 s1, 16, v0
	v_lshlrev_b32_e32 v11, 2, v0
	s_delay_alu instid0(VALU_DEP_2)
	s_and_saveexec_b32 s2, s1
	s_cbranch_execz .LBB1_6
; %bb.5:
	s_delay_alu instid0(VALU_DEP_1) | instskip(NEXT) | instid1(VALU_DEP_1)
	v_add_co_u32 v3, s10, s4, v11
	v_add_co_ci_u32_e64 v4, null, s5, 0, s10
	s_delay_alu instid0(VALU_DEP_2) | instskip(NEXT) | instid1(VALU_DEP_2)
	v_add_co_u32 v3, vcc_lo, 0x1000, v3
	v_add_co_ci_u32_e32 v4, vcc_lo, 0, v4, vcc_lo
	s_clause 0x2
	global_load_b32 v5, v[3:4], off offset:12
	global_load_b32 v6, v[3:4], off offset:76
	;; [unrolled: 1-line block ×3, first 2 shown]
	v_add_nc_u32_e32 v4, 0x1000, v9
	s_waitcnt vmcnt(1)
	ds_store_2addr_b32 v4, v5, v6 offset0:3 offset1:19
	s_waitcnt vmcnt(0)
	ds_store_b32 v9, v3 offset:4244
.LBB1_6:
	s_or_b32 exec_lo, exec_lo, s2
	s_mov_b32 s10, 0
	s_mov_b32 s11, s9
	s_waitcnt lgkmcnt(0)
	s_cmp_lg_u64 s[10:11], 0
	s_barrier
	buffer_gl0_inv
	s_cbranch_scc0 .LBB1_23
; %bb.7:
	v_cvt_f32_u32_e32 v3, s3
	s_sub_u32 s14, 0, s3
	s_subb_u32 s16, 0, 0
	s_delay_alu instid0(VALU_DEP_1) | instskip(NEXT) | instid1(VALU_DEP_1)
	v_fmamk_f32 v3, 0, 0x4f800000, v3
	v_rcp_f32_e32 v3, v3
	s_waitcnt_depctr 0xfff
	v_mul_f32_e32 v3, 0x5f7ffffc, v3
	s_delay_alu instid0(VALU_DEP_1) | instskip(NEXT) | instid1(VALU_DEP_1)
	v_mul_f32_e32 v4, 0x2f800000, v3
	v_trunc_f32_e32 v4, v4
	s_delay_alu instid0(VALU_DEP_1) | instskip(SKIP_1) | instid1(VALU_DEP_2)
	v_fmamk_f32 v3, v4, 0xcf800000, v3
	v_cvt_u32_f32_e32 v4, v4
	v_cvt_u32_f32_e32 v3, v3
	s_delay_alu instid0(VALU_DEP_2) | instskip(NEXT) | instid1(VALU_DEP_2)
	v_readfirstlane_b32 s2, v4
	v_readfirstlane_b32 s11, v3
	s_delay_alu instid0(VALU_DEP_2) | instskip(NEXT) | instid1(VALU_DEP_1)
	s_mul_i32 s17, s14, s2
	s_mul_hi_u32 s19, s14, s11
	s_mul_i32 s18, s16, s11
	s_add_i32 s17, s19, s17
	s_mul_i32 s20, s14, s11
	s_add_i32 s17, s17, s18
	s_mul_hi_u32 s19, s11, s20
	s_mul_hi_u32 s21, s2, s20
	s_mul_i32 s18, s2, s20
	s_mul_hi_u32 s20, s11, s17
	s_mul_i32 s11, s11, s17
	s_mul_hi_u32 s22, s2, s17
	s_add_u32 s11, s19, s11
	s_addc_u32 s19, 0, s20
	s_add_u32 s11, s11, s18
	s_mul_i32 s17, s2, s17
	s_addc_u32 s11, s19, s21
	s_addc_u32 s18, s22, 0
	s_add_u32 s11, s11, s17
	s_addc_u32 s17, 0, s18
	v_add_co_u32 v3, s11, v3, s11
	s_delay_alu instid0(VALU_DEP_1) | instskip(SKIP_1) | instid1(VALU_DEP_1)
	s_cmp_lg_u32 s11, 0
	s_addc_u32 s2, s2, s17
	v_readfirstlane_b32 s11, v3
	s_mul_i32 s17, s14, s2
	s_delay_alu instid0(VALU_DEP_1)
	s_mul_hi_u32 s18, s14, s11
	s_mul_i32 s16, s16, s11
	s_add_i32 s17, s18, s17
	s_mul_i32 s14, s14, s11
	s_add_i32 s17, s17, s16
	s_mul_hi_u32 s18, s2, s14
	s_mul_i32 s19, s2, s14
	s_mul_hi_u32 s14, s11, s14
	s_mul_hi_u32 s20, s11, s17
	s_mul_i32 s11, s11, s17
	s_mul_hi_u32 s16, s2, s17
	s_add_u32 s11, s14, s11
	s_addc_u32 s14, 0, s20
	s_add_u32 s11, s11, s19
	s_mul_i32 s17, s2, s17
	s_addc_u32 s11, s14, s18
	s_addc_u32 s14, s16, 0
	s_add_u32 s11, s11, s17
	s_addc_u32 s14, 0, s14
	v_add_co_u32 v3, s11, v3, s11
	s_delay_alu instid0(VALU_DEP_1) | instskip(SKIP_1) | instid1(VALU_DEP_1)
	s_cmp_lg_u32 s11, 0
	s_addc_u32 s2, s2, s14
	v_readfirstlane_b32 s11, v3
	s_mul_i32 s16, s8, s2
	s_mul_hi_u32 s14, s8, s2
	s_mul_hi_u32 s17, s9, s2
	s_mul_i32 s2, s9, s2
	s_mul_hi_u32 s18, s8, s11
	s_mul_hi_u32 s19, s9, s11
	s_mul_i32 s11, s9, s11
	s_add_u32 s16, s18, s16
	s_addc_u32 s14, 0, s14
	s_add_u32 s11, s16, s11
	s_addc_u32 s11, s14, s19
	s_addc_u32 s14, s17, 0
	s_add_u32 s2, s11, s2
	s_addc_u32 s11, 0, s14
	s_mul_hi_u32 s14, s3, s2
	s_mul_i32 s2, s3, s2
	s_mul_i32 s11, s3, s11
	v_sub_co_u32 v3, s2, s8, s2
	s_add_i32 s14, s14, s11
	s_cmp_lg_u32 s2, 0
	s_delay_alu instid0(VALU_DEP_1) | instskip(SKIP_2) | instid1(VALU_DEP_1)
	v_sub_co_u32 v4, s2, v3, s3
	s_subb_u32 s11, s9, s14
	s_cmp_lg_u32 s2, 0
	v_cmp_le_u32_e32 vcc_lo, s3, v4
	v_sub_co_u32 v5, s2, v4, s3
	s_subb_u32 s14, s11, 0
	s_cmp_lg_u32 s2, 0
	v_cndmask_b32_e64 v6, 0, -1, vcc_lo
	s_subb_u32 s2, s14, 0
	s_cmp_eq_u32 s14, 0
	v_mov_b32_e32 v8, s2
	s_cselect_b32 vcc_lo, -1, 0
	s_cmp_eq_u32 s11, 0
	v_cndmask_b32_e32 v6, -1, v6, vcc_lo
	v_cmp_le_u32_e32 vcc_lo, s3, v3
	s_cselect_b32 s2, -1, 0
	v_cndmask_b32_e64 v7, 0, -1, vcc_lo
	s_delay_alu instid0(VALU_DEP_3) | instskip(NEXT) | instid1(VALU_DEP_2)
	v_cmp_ne_u32_e32 vcc_lo, 0, v6
	v_cndmask_b32_e64 v6, -1, v7, s2
	v_cndmask_b32_e32 v7, s14, v8, vcc_lo
	v_cndmask_b32_e32 v5, v4, v5, vcc_lo
	s_delay_alu instid0(VALU_DEP_3) | instskip(NEXT) | instid1(VALU_DEP_2)
	v_cmp_ne_u32_e32 vcc_lo, 0, v6
	v_cndmask_b32_e32 v3, v3, v5, vcc_lo
	s_delay_alu instid0(VALU_DEP_4)
	v_cndmask_b32_e32 v4, s11, v7, vcc_lo
	s_and_not1_b32 vcc_lo, exec_lo, s10
	s_cbranch_vccnz .LBB1_9
.LBB1_8:
	v_cvt_f32_u32_e32 v3, s3
	s_mov_b32 s11, 0
	s_sub_i32 s10, 0, s3
	s_delay_alu instid0(VALU_DEP_1) | instskip(SKIP_2) | instid1(VALU_DEP_1)
	v_rcp_iflag_f32_e32 v3, v3
	s_waitcnt_depctr 0xfff
	v_mul_f32_e32 v3, 0x4f7ffffe, v3
	v_cvt_u32_f32_e32 v3, v3
	s_delay_alu instid0(VALU_DEP_1) | instskip(NEXT) | instid1(VALU_DEP_1)
	v_readfirstlane_b32 s2, v3
	s_mul_i32 s10, s10, s2
	s_delay_alu instid0(SALU_CYCLE_1) | instskip(NEXT) | instid1(SALU_CYCLE_1)
	s_mul_hi_u32 s10, s2, s10
	s_add_i32 s2, s2, s10
	s_delay_alu instid0(SALU_CYCLE_1) | instskip(NEXT) | instid1(SALU_CYCLE_1)
	s_mul_hi_u32 s2, s8, s2
	s_mul_i32 s2, s2, s3
	s_delay_alu instid0(SALU_CYCLE_1) | instskip(NEXT) | instid1(SALU_CYCLE_1)
	s_sub_i32 s2, s8, s2
	s_sub_i32 s10, s2, s3
	s_cmp_ge_u32 s2, s3
	s_cselect_b32 s2, s10, s2
	s_delay_alu instid0(SALU_CYCLE_1) | instskip(SKIP_2) | instid1(SALU_CYCLE_1)
	s_sub_i32 s10, s2, s3
	s_cmp_ge_u32 s2, s3
	s_cselect_b32 s10, s10, s2
	v_dual_mov_b32 v3, s10 :: v_dual_mov_b32 v4, s11
.LBB1_9:
	s_delay_alu instid0(VALU_DEP_1) | instskip(NEXT) | instid1(VALU_DEP_2)
	v_sub_co_u32 v5, vcc_lo, s3, v3
	v_sub_co_ci_u32_e32 v6, vcc_lo, 0, v4, vcc_lo
	v_cmp_ne_u64_e32 vcc_lo, 0, v[3:4]
	v_mad_u64_u32 v[3:4], null, s15, s3, v[0:1]
	v_mov_b32_e32 v4, 0
	s_mov_b32 s10, 0
	s_mov_b32 s2, exec_lo
	v_dual_cndmask_b32 v6, 0, v6 :: v_dual_cndmask_b32 v5, 0, v5
	s_delay_alu instid0(VALU_DEP_1) | instskip(NEXT) | instid1(VALU_DEP_2)
	v_add_co_u32 v5, vcc_lo, v5, s8
	v_add_co_ci_u32_e32 v6, vcc_lo, s9, v6, vcc_lo
	s_delay_alu instid0(VALU_DEP_1)
	v_cmpx_gt_u64_e64 v[5:6], v[3:4]
	s_cbranch_execz .LBB1_16
; %bb.10:
	s_add_i32 s11, s15, s13
	v_dual_mov_b32 v8, v4 :: v_dual_mov_b32 v7, v3
	v_mad_u64_u32 v[14:15], null, s11, s3, v[0:1]
	v_mov_b32_e32 v12, 0x108c
	v_add_nc_u32_e64 v13, 0x1000, 0
	s_mul_i32 s13, s13, s3
	s_mov_b32 s11, 0
	s_delay_alu instid0(VALU_DEP_3)
	v_mov_b32_e32 v3, v14
	s_branch .LBB1_12
.LBB1_11:                               ;   in Loop: Header=BB1_12 Depth=1
	s_or_b32 exec_lo, exec_lo, s14
	v_cmp_le_u64_e32 vcc_lo, v[5:6], v[3:4]
	v_dual_mov_b32 v8, v4 :: v_dual_mov_b32 v7, v3
	v_add_nc_u32_e32 v3, s13, v3
	s_or_b32 s11, vcc_lo, s11
	s_delay_alu instid0(SALU_CYCLE_1)
	s_and_not1_b32 exec_lo, exec_lo, s11
	s_cbranch_execz .LBB1_16
.LBB1_12:                               ; =>This Inner Loop Header: Depth=1
	ds_load_b32 v16, v4
	ds_load_2addr_b32 v[14:15], v13 offset0:2 offset1:53
	s_waitcnt lgkmcnt(1)
	v_add_nc_u32_e32 v18, v16, v0
	s_delay_alu instid0(VALU_DEP_1) | instskip(SKIP_3) | instid1(VALU_DEP_3)
	v_and_b32_e32 v17, 0x3ff, v18
	v_add_nc_u32_e32 v16, 1, v18
	s_waitcnt lgkmcnt(0)
	v_add_nc_u32_e32 v14, v14, v18
	v_lshlrev_b32_e32 v17, 2, v17
	s_delay_alu instid0(VALU_DEP_3) | instskip(NEXT) | instid1(VALU_DEP_3)
	v_and_b32_e32 v16, 0x3ff, v16
	v_and_b32_e32 v19, 0x3ff, v14
	v_add_nc_u32_e32 v14, -1, v14
	ds_load_b32 v20, v17 offset:8
	v_lshlrev_b32_e32 v16, 2, v16
	v_lshlrev_b32_e32 v17, 2, v19
	ds_load_b32 v19, v16 offset:8
	ds_load_b32 v21, v17 offset:8
	ds_load_2addr_b32 v[16:17], v12 offset1:1
	s_waitcnt lgkmcnt(3)
	v_and_b32_e32 v15, v15, v20
	s_waitcnt lgkmcnt(2)
	s_delay_alu instid0(VALU_DEP_1) | instskip(SKIP_2) | instid1(VALU_DEP_2)
	v_xor_b32_e32 v15, v15, v19
	s_waitcnt lgkmcnt(0)
	v_lshrrev_b32_e32 v17, v17, v21
	v_lshlrev_b32_e32 v16, v16, v15
	s_delay_alu instid0(VALU_DEP_1) | instskip(SKIP_2) | instid1(VALU_DEP_3)
	v_xor3_b32 v15, v17, v16, v15
	v_add_nc_u32_e32 v17, 0x15f, v18
	v_and_b32_e32 v18, 0x3ff, v14
	v_and_b32_e32 v16, 15, v15
	s_delay_alu instid0(VALU_DEP_3) | instskip(NEXT) | instid1(VALU_DEP_2)
	v_and_b32_e32 v17, 0x3ff, v17
	v_lshlrev_b32_e32 v16, 2, v16
	ds_load_b32 v16, v16 offset:4108
	s_waitcnt lgkmcnt(0)
	v_xor_b32_e32 v14, v15, v16
	v_lshlrev_b32_e32 v15, 2, v17
	v_lshlrev_b32_e32 v16, 2, v18
	ds_store_b32 v15, v14 offset:8
	ds_load_b32 v15, v16 offset:8
	s_waitcnt lgkmcnt(0)
	v_lshrrev_b32_e32 v16, 16, v15
	s_delay_alu instid0(VALU_DEP_1) | instskip(NEXT) | instid1(VALU_DEP_1)
	v_xor_b32_e32 v15, v16, v15
	v_lshrrev_b32_e32 v16, 8, v15
	s_delay_alu instid0(VALU_DEP_1) | instskip(NEXT) | instid1(VALU_DEP_1)
	v_xor_b32_e32 v15, v16, v15
	v_and_b32_e32 v15, 15, v15
	s_delay_alu instid0(VALU_DEP_1)
	v_lshlrev_b32_e32 v15, 2, v15
	ds_load_b32 v15, v15 offset:4172
	s_waitcnt lgkmcnt(0)
	s_waitcnt_vscnt null, 0x0
	s_barrier
	buffer_gl0_inv
	s_and_saveexec_b32 s14, s0
	s_cbranch_execz .LBB1_14
; %bb.13:                               ;   in Loop: Header=BB1_12 Depth=1
	ds_load_b32 v16, v4
	s_waitcnt lgkmcnt(0)
	v_add_nc_u32_e32 v16, s3, v16
	s_delay_alu instid0(VALU_DEP_1)
	v_and_b32_e32 v16, 0x3ff, v16
	ds_store_b32 v4, v16
.LBB1_14:                               ;   in Loop: Header=BB1_12 Depth=1
	s_or_b32 exec_lo, exec_lo, s14
	s_delay_alu instid0(SALU_CYCLE_1)
	s_mov_b32 s14, exec_lo
	s_waitcnt lgkmcnt(0)
	s_barrier
	buffer_gl0_inv
	v_cmpx_gt_u64_e64 s[8:9], v[7:8]
	s_cbranch_execz .LBB1_11
; %bb.15:                               ;   in Loop: Header=BB1_12 Depth=1
	v_lshlrev_b64 v[7:8], 2, v[7:8]
	v_xor_b32_e32 v14, v15, v14
	s_delay_alu instid0(VALU_DEP_2) | instskip(NEXT) | instid1(VALU_DEP_3)
	v_add_co_u32 v7, vcc_lo, s6, v7
	v_add_co_ci_u32_e32 v8, vcc_lo, s7, v8, vcc_lo
	global_store_b32 v[7:8], v14, off
	s_branch .LBB1_11
.LBB1_16:
	s_or_b32 exec_lo, exec_lo, s2
.LBB1_17:                               ; =>This Inner Loop Header: Depth=1
	ds_load_b32 v3, v10
	v_add_nc_u32_e32 v0, s3, v0
	v_add_nc_u32_e32 v10, s12, v10
	s_delay_alu instid0(VALU_DEP_2) | instskip(SKIP_4) | instid1(VALU_DEP_1)
	v_cmp_lt_u32_e32 vcc_lo, 0x3ff, v0
	s_or_b32 s10, vcc_lo, s10
	s_waitcnt lgkmcnt(0)
	global_store_b32 v[1:2], v3, off
	v_add_co_u32 v1, s2, v1, s12
	v_add_co_ci_u32_e64 v2, s2, 0, v2, s2
	s_and_not1_b32 exec_lo, exec_lo, s10
	s_cbranch_execnz .LBB1_17
; %bb.18:
	s_or_b32 exec_lo, exec_lo, s10
	s_and_saveexec_b32 s2, s0
	s_cbranch_execz .LBB1_20
; %bb.19:
	v_dual_mov_b32 v6, 0 :: v_dual_mov_b32 v7, 0x1000
	v_add_nc_u32_e64 v2, 0x1000, 0
	v_mov_b32_e32 v4, 0x108c
	ds_load_b64 v[0:1], v6
	ds_load_2addr_b32 v[2:3], v2 offset0:2 offset1:53
	ds_load_2addr_b32 v[4:5], v4 offset1:1
	s_waitcnt lgkmcnt(0)
	s_clause 0x3
	global_store_b64 v6, v[0:1], s[4:5]
	global_store_b32 v7, v2, s[4:5] offset:8
	global_store_b64 v7, v[4:5], s[4:5] offset:140
	global_store_b32 v7, v3, s[4:5] offset:212
.LBB1_20:
	s_or_b32 exec_lo, exec_lo, s2
	s_and_saveexec_b32 s0, s1
	s_cbranch_execz .LBB1_22
; %bb.21:
	v_add_nc_u32_e32 v0, 0x1000, v9
	v_add_co_u32 v2, s1, s4, v11
	s_delay_alu instid0(VALU_DEP_1)
	v_add_co_ci_u32_e64 v3, null, s5, 0, s1
	ds_load_2addr_b32 v[0:1], v0 offset0:3 offset1:19
	ds_load_b32 v4, v9 offset:4244
	v_add_co_u32 v2, vcc_lo, 0x1000, v2
	v_add_co_ci_u32_e32 v3, vcc_lo, 0, v3, vcc_lo
	s_waitcnt lgkmcnt(1)
	s_clause 0x1
	global_store_b32 v[2:3], v0, off offset:12
	global_store_b32 v[2:3], v1, off offset:76
	s_waitcnt lgkmcnt(0)
	global_store_b32 v[2:3], v4, off offset:148
.LBB1_22:
	s_or_b32 exec_lo, exec_lo, s0
	s_waitcnt_vscnt null, 0x0
	s_barrier
	buffer_gl0_inv
	s_endpgm
.LBB1_23:
                                        ; implicit-def: $vgpr3_vgpr4
	s_branch .LBB1_8
	.section	.rodata,"a",@progbits
	.p2align	6, 0x0
	.amdhsa_kernel _Z21mtgp32_rocrand_kernelIN14rocrand_device13mtgp32_engineEEvPT_Pjm
		.amdhsa_group_segment_fixed_size 4312
		.amdhsa_private_segment_fixed_size 0
		.amdhsa_kernarg_size 280
		.amdhsa_user_sgpr_count 15
		.amdhsa_user_sgpr_dispatch_ptr 0
		.amdhsa_user_sgpr_queue_ptr 0
		.amdhsa_user_sgpr_kernarg_segment_ptr 1
		.amdhsa_user_sgpr_dispatch_id 0
		.amdhsa_user_sgpr_private_segment_size 0
		.amdhsa_wavefront_size32 1
		.amdhsa_uses_dynamic_stack 0
		.amdhsa_enable_private_segment 0
		.amdhsa_system_sgpr_workgroup_id_x 1
		.amdhsa_system_sgpr_workgroup_id_y 0
		.amdhsa_system_sgpr_workgroup_id_z 0
		.amdhsa_system_sgpr_workgroup_info 0
		.amdhsa_system_vgpr_workitem_id 0
		.amdhsa_next_free_vgpr 22
		.amdhsa_next_free_sgpr 23
		.amdhsa_reserve_vcc 1
		.amdhsa_float_round_mode_32 0
		.amdhsa_float_round_mode_16_64 0
		.amdhsa_float_denorm_mode_32 3
		.amdhsa_float_denorm_mode_16_64 3
		.amdhsa_dx10_clamp 1
		.amdhsa_ieee_mode 1
		.amdhsa_fp16_overflow 0
		.amdhsa_workgroup_processor_mode 1
		.amdhsa_memory_ordered 1
		.amdhsa_forward_progress 0
		.amdhsa_shared_vgpr_count 0
		.amdhsa_exception_fp_ieee_invalid_op 0
		.amdhsa_exception_fp_denorm_src 0
		.amdhsa_exception_fp_ieee_div_zero 0
		.amdhsa_exception_fp_ieee_overflow 0
		.amdhsa_exception_fp_ieee_underflow 0
		.amdhsa_exception_fp_ieee_inexact 0
		.amdhsa_exception_int_div_zero 0
	.end_amdhsa_kernel
	.section	.text._Z21mtgp32_rocrand_kernelIN14rocrand_device13mtgp32_engineEEvPT_Pjm,"axG",@progbits,_Z21mtgp32_rocrand_kernelIN14rocrand_device13mtgp32_engineEEvPT_Pjm,comdat
.Lfunc_end1:
	.size	_Z21mtgp32_rocrand_kernelIN14rocrand_device13mtgp32_engineEEvPT_Pjm, .Lfunc_end1-_Z21mtgp32_rocrand_kernelIN14rocrand_device13mtgp32_engineEEvPT_Pjm
                                        ; -- End function
	.section	.AMDGPU.csdata,"",@progbits
; Kernel info:
; codeLenInByte = 2104
; NumSgprs: 25
; NumVgprs: 22
; ScratchSize: 0
; MemoryBound: 0
; FloatMode: 240
; IeeeMode: 1
; LDSByteSize: 4312 bytes/workgroup (compile time only)
; SGPRBlocks: 3
; VGPRBlocks: 2
; NumSGPRsForWavesPerEU: 25
; NumVGPRsForWavesPerEU: 22
; Occupancy: 16
; WaveLimiterHint : 1
; COMPUTE_PGM_RSRC2:SCRATCH_EN: 0
; COMPUTE_PGM_RSRC2:USER_SGPR: 15
; COMPUTE_PGM_RSRC2:TRAP_HANDLER: 0
; COMPUTE_PGM_RSRC2:TGID_X_EN: 1
; COMPUTE_PGM_RSRC2:TGID_Y_EN: 0
; COMPUTE_PGM_RSRC2:TGID_Z_EN: 0
; COMPUTE_PGM_RSRC2:TIDIG_COMP_CNT: 0
	.section	.text._Z22lfsr113_rocrand_kernelIN14rocrand_device14lfsr113_engineEEvPjm15HIP_vector_typeIjLj4EE,"axG",@progbits,_Z22lfsr113_rocrand_kernelIN14rocrand_device14lfsr113_engineEEvPjm15HIP_vector_typeIjLj4EE,comdat
	.protected	_Z22lfsr113_rocrand_kernelIN14rocrand_device14lfsr113_engineEEvPjm15HIP_vector_typeIjLj4EE ; -- Begin function _Z22lfsr113_rocrand_kernelIN14rocrand_device14lfsr113_engineEEvPjm15HIP_vector_typeIjLj4EE
	.globl	_Z22lfsr113_rocrand_kernelIN14rocrand_device14lfsr113_engineEEvPjm15HIP_vector_typeIjLj4EE
	.p2align	8
	.type	_Z22lfsr113_rocrand_kernelIN14rocrand_device14lfsr113_engineEEvPjm15HIP_vector_typeIjLj4EE,@function
_Z22lfsr113_rocrand_kernelIN14rocrand_device14lfsr113_engineEEvPjm15HIP_vector_typeIjLj4EE: ; @_Z22lfsr113_rocrand_kernelIN14rocrand_device14lfsr113_engineEEvPjm15HIP_vector_typeIjLj4EE
; %bb.0:
	s_clause 0x2
	s_load_b32 s2, s[0:1], 0x2c
	s_load_b128 s[4:7], s[0:1], 0x10
	s_load_b32 s8, s[0:1], 0x20
	s_mov_b32 s11, 0
	s_mov_b32 s10, exec_lo
	s_waitcnt lgkmcnt(0)
	s_and_b32 s9, s2, 0xffff
	v_dual_mov_b32 v6, s6 :: v_dual_mov_b32 v5, s7
	v_mad_u64_u32 v[3:4], null, s15, s9, v[0:1]
	v_dual_mov_b32 v1, 0 :: v_dual_mov_b32 v8, s5
	v_dual_mov_b32 v2, 0 :: v_dual_mov_b32 v7, s4
	s_delay_alu instid0(VALU_DEP_3)
	v_cmpx_ne_u32_e32 0, v3
	s_cbranch_execz .LBB2_10
; %bb.1:
	v_dual_mov_b32 v4, 0 :: v_dual_mov_b32 v5, s7
	v_dual_mov_b32 v1, v3 :: v_dual_mov_b32 v6, s6
	s_delay_alu instid0(VALU_DEP_2)
	v_dual_mov_b32 v7, s4 :: v_dual_mov_b32 v2, v4
	v_mov_b32_e32 v8, s5
	s_getpc_b64 s[2:3]
	s_add_u32 s2, s2, _ZL32d_lfsr113_sequence_jump_matrices@rel32@lo+4
	s_addc_u32 s3, s3, _ZL32d_lfsr113_sequence_jump_matrices@rel32@hi+12
	s_branch .LBB2_3
.LBB2_2:                                ;   in Loop: Header=BB2_3 Depth=1
	s_or_b32 exec_lo, exec_lo, s6
	v_lshrrev_b64 v[9:10], 2, v[3:4]
	v_cmp_gt_u64_e32 vcc_lo, 4, v[3:4]
	s_add_u32 s2, s2, 0x800
	s_addc_u32 s3, s3, 0
	s_delay_alu instid0(VALU_DEP_2) | instskip(SKIP_1) | instid1(SALU_CYCLE_1)
	v_dual_mov_b32 v3, v9 :: v_dual_mov_b32 v4, v10
	s_or_b32 s11, vcc_lo, s11
	s_and_not1_b32 exec_lo, exec_lo, s11
	s_cbranch_execz .LBB2_9
.LBB2_3:                                ; =>This Loop Header: Depth=1
                                        ;     Child Loop BB2_5 Depth 2
                                        ;       Child Loop BB2_6 Depth 3
	s_delay_alu instid0(VALU_DEP_1) | instskip(SKIP_1) | instid1(VALU_DEP_1)
	v_and_b32_e32 v9, 3, v3
	s_mov_b32 s6, exec_lo
	v_cmpx_ne_u32_e32 0, v9
	s_cbranch_execz .LBB2_2
; %bb.4:                                ;   in Loop: Header=BB2_3 Depth=1
	s_mov_b32 s7, 0
	s_mov_b32 s12, 0
.LBB2_5:                                ;   Parent Loop BB2_3 Depth=1
                                        ; =>  This Loop Header: Depth=2
                                        ;       Child Loop BB2_6 Depth 3
	v_dual_mov_b32 v10, v7 :: v_dual_mov_b32 v11, v8
	v_dual_mov_b32 v12, v6 :: v_dual_mov_b32 v13, v5
	;; [unrolled: 1-line block ×4, first 2 shown]
	s_mov_b64 s[4:5], s[2:3]
	s_mov_b32 s13, 0
.LBB2_6:                                ;   Parent Loop BB2_3 Depth=1
                                        ;     Parent Loop BB2_5 Depth=2
                                        ; =>    This Inner Loop Header: Depth=3
	s_delay_alu instid0(SALU_CYCLE_1)
	s_lshr_b32 s14, s13, 5
	s_and_b32 s33, s13, 28
	s_cmp_eq_u32 s14, 1
	s_load_b512 s[16:31], s[4:5], 0x0
	s_cselect_b32 vcc_lo, -1, 0
	s_cmp_eq_u32 s14, 2
	v_cndmask_b32_e32 v14, v10, v11, vcc_lo
	s_cselect_b32 vcc_lo, -1, 0
	s_cmp_eq_u32 s14, 3
	s_delay_alu instid0(VALU_DEP_1)
	v_cndmask_b32_e32 v14, v14, v12, vcc_lo
	s_cselect_b32 vcc_lo, -1, 0
	s_add_i32 s14, s13, 1
	s_add_i32 s34, s13, 2
	s_and_b32 s14, s14, 29
	v_cndmask_b32_e32 v14, v14, v13, vcc_lo
	s_add_i32 s35, s13, 3
	s_and_b32 s34, s34, 30
	s_add_i32 s13, s13, 4
	s_add_u32 s4, s4, 64
	v_lshrrev_b32_e32 v15, s33, v14
	s_addc_u32 s5, s5, 0
	s_cmpk_lg_i32 s13, 0x80
	s_delay_alu instid0(VALU_DEP_1) | instskip(SKIP_1) | instid1(VALU_DEP_1)
	v_bfe_i32 v15, v15, 0, 1
	s_waitcnt lgkmcnt(0)
	v_and_b32_e32 v18, s16, v15
	v_and_b32_e32 v19, s17, v15
	;; [unrolled: 1-line block ×4, first 2 shown]
	v_lshrrev_b32_e32 v16, s14, v14
	v_lshrrev_b32_e32 v17, s34, v14
	;; [unrolled: 1-line block ×3, first 2 shown]
	s_delay_alu instid0(VALU_DEP_3) | instskip(NEXT) | instid1(VALU_DEP_3)
	v_bfe_i32 v16, v16, 0, 1
	v_bfe_i32 v17, v17, 0, 1
	s_delay_alu instid0(VALU_DEP_3) | instskip(NEXT) | instid1(VALU_DEP_3)
	v_bfe_i32 v14, v14, 0, 1
	v_and_b32_e32 v21, s20, v16
	v_and_b32_e32 v22, s21, v16
	;; [unrolled: 1-line block ×12, first 2 shown]
	v_xor3_b32 v7, v18, v7, v21
	v_xor3_b32 v8, v19, v8, v22
	;; [unrolled: 1-line block ×4, first 2 shown]
	s_delay_alu instid0(VALU_DEP_4) | instskip(NEXT) | instid1(VALU_DEP_4)
	v_xor3_b32 v7, v24, v7, v27
	v_xor3_b32 v8, v25, v8, v28
	s_delay_alu instid0(VALU_DEP_4) | instskip(NEXT) | instid1(VALU_DEP_4)
	v_xor3_b32 v6, v26, v6, v29
	v_xor3_b32 v5, v17, v5, v14
	s_cbranch_scc1 .LBB2_6
; %bb.7:                                ;   in Loop: Header=BB2_5 Depth=2
	s_add_i32 s12, s12, 1
	s_delay_alu instid0(SALU_CYCLE_1) | instskip(SKIP_1) | instid1(SALU_CYCLE_1)
	v_cmp_eq_u32_e32 vcc_lo, s12, v9
	s_or_b32 s7, vcc_lo, s7
	s_and_not1_b32 exec_lo, exec_lo, s7
	s_cbranch_execnz .LBB2_5
; %bb.8:                                ;   in Loop: Header=BB2_3 Depth=1
	s_or_b32 exec_lo, exec_lo, s7
	s_branch .LBB2_2
.LBB2_9:
	s_or_b32 exec_lo, exec_lo, s11
.LBB2_10:
	s_delay_alu instid0(SALU_CYCLE_1)
	s_or_b32 exec_lo, exec_lo, s10
	s_load_b128 s[4:7], s[0:1], 0x0
	s_mov_b32 s0, exec_lo
	s_waitcnt lgkmcnt(0)
	v_cmpx_gt_u64_e64 s[6:7], v[1:2]
	s_cbranch_execz .LBB2_13
; %bb.11:
	s_add_i32 s15, s15, s8
	s_mul_i32 s8, s8, s9
	v_mad_u64_u32 v[3:4], null, s15, s9, v[0:1]
	v_mov_b32_e32 v4, 0
	s_mov_b32 s1, 0
	s_set_inst_prefetch_distance 0x1
	.p2align	6
.LBB2_12:                               ; =>This Inner Loop Header: Depth=1
	v_lshlrev_b32_e32 v9, 13, v6
	v_lshlrev_b32_e32 v10, 3, v5
	;; [unrolled: 1-line block ×5, first 2 shown]
	v_xor_b32_e32 v6, v9, v6
	v_xor_b32_e32 v9, v10, v5
	v_lshlrev_b32_e32 v11, 18, v7
	v_lshlrev_b32_e32 v5, 13, v5
	v_xor_b32_e32 v0, v0, v7
	v_xor_b32_e32 v7, v12, v8
	v_lshrrev_b32_e32 v6, 21, v6
	v_lshrrev_b32_e32 v8, 12, v9
	v_lshlrev_b64 v[9:10], 2, v[1:2]
	v_mov_b32_e32 v1, v3
	v_lshrrev_b32_e32 v0, 13, v0
	v_lshrrev_b32_e32 v14, 27, v7
	v_and_or_b32 v6, 0xfffff800, v13, v6
	v_and_or_b32 v5, 0xfff00000, v5, v8
	v_cmp_le_u64_e32 vcc_lo, s[6:7], v[3:4]
	v_and_or_b32 v7, 0xfff80000, v11, v0
	v_and_or_b32 v8, 0xffffffe0, v12, v14
	v_add_co_u32 v9, s0, s4, v9
	v_xor_b32_e32 v0, v6, v5
	v_mov_b32_e32 v2, v4
	v_add_co_ci_u32_e64 v10, s0, s5, v10, s0
	v_add_nc_u32_e32 v3, s8, v3
	s_delay_alu instid0(VALU_DEP_4)
	v_xor3_b32 v0, v0, v8, v7
	s_or_b32 s1, vcc_lo, s1
	global_store_b32 v[9:10], v0, off
	s_and_not1_b32 exec_lo, exec_lo, s1
	s_cbranch_execnz .LBB2_12
.LBB2_13:
	s_set_inst_prefetch_distance 0x2
	s_nop 0
	s_sendmsg sendmsg(MSG_DEALLOC_VGPRS)
	s_endpgm
	.section	.rodata,"a",@progbits
	.p2align	6, 0x0
	.amdhsa_kernel _Z22lfsr113_rocrand_kernelIN14rocrand_device14lfsr113_engineEEvPjm15HIP_vector_typeIjLj4EE
		.amdhsa_group_segment_fixed_size 0
		.amdhsa_private_segment_fixed_size 0
		.amdhsa_kernarg_size 288
		.amdhsa_user_sgpr_count 15
		.amdhsa_user_sgpr_dispatch_ptr 0
		.amdhsa_user_sgpr_queue_ptr 0
		.amdhsa_user_sgpr_kernarg_segment_ptr 1
		.amdhsa_user_sgpr_dispatch_id 0
		.amdhsa_user_sgpr_private_segment_size 0
		.amdhsa_wavefront_size32 1
		.amdhsa_uses_dynamic_stack 0
		.amdhsa_enable_private_segment 0
		.amdhsa_system_sgpr_workgroup_id_x 1
		.amdhsa_system_sgpr_workgroup_id_y 0
		.amdhsa_system_sgpr_workgroup_id_z 0
		.amdhsa_system_sgpr_workgroup_info 0
		.amdhsa_system_vgpr_workitem_id 0
		.amdhsa_next_free_vgpr 30
		.amdhsa_next_free_sgpr 36
		.amdhsa_reserve_vcc 1
		.amdhsa_float_round_mode_32 0
		.amdhsa_float_round_mode_16_64 0
		.amdhsa_float_denorm_mode_32 3
		.amdhsa_float_denorm_mode_16_64 3
		.amdhsa_dx10_clamp 1
		.amdhsa_ieee_mode 1
		.amdhsa_fp16_overflow 0
		.amdhsa_workgroup_processor_mode 1
		.amdhsa_memory_ordered 1
		.amdhsa_forward_progress 0
		.amdhsa_shared_vgpr_count 0
		.amdhsa_exception_fp_ieee_invalid_op 0
		.amdhsa_exception_fp_denorm_src 0
		.amdhsa_exception_fp_ieee_div_zero 0
		.amdhsa_exception_fp_ieee_overflow 0
		.amdhsa_exception_fp_ieee_underflow 0
		.amdhsa_exception_fp_ieee_inexact 0
		.amdhsa_exception_int_div_zero 0
	.end_amdhsa_kernel
	.section	.text._Z22lfsr113_rocrand_kernelIN14rocrand_device14lfsr113_engineEEvPjm15HIP_vector_typeIjLj4EE,"axG",@progbits,_Z22lfsr113_rocrand_kernelIN14rocrand_device14lfsr113_engineEEvPjm15HIP_vector_typeIjLj4EE,comdat
.Lfunc_end2:
	.size	_Z22lfsr113_rocrand_kernelIN14rocrand_device14lfsr113_engineEEvPjm15HIP_vector_typeIjLj4EE, .Lfunc_end2-_Z22lfsr113_rocrand_kernelIN14rocrand_device14lfsr113_engineEEvPjm15HIP_vector_typeIjLj4EE
                                        ; -- End function
	.section	.AMDGPU.csdata,"",@progbits
; Kernel info:
; codeLenInByte = 868
; NumSgprs: 38
; NumVgprs: 30
; ScratchSize: 0
; MemoryBound: 0
; FloatMode: 240
; IeeeMode: 1
; LDSByteSize: 0 bytes/workgroup (compile time only)
; SGPRBlocks: 4
; VGPRBlocks: 3
; NumSGPRsForWavesPerEU: 38
; NumVGPRsForWavesPerEU: 30
; Occupancy: 16
; WaveLimiterHint : 0
; COMPUTE_PGM_RSRC2:SCRATCH_EN: 0
; COMPUTE_PGM_RSRC2:USER_SGPR: 15
; COMPUTE_PGM_RSRC2:TRAP_HANDLER: 0
; COMPUTE_PGM_RSRC2:TGID_X_EN: 1
; COMPUTE_PGM_RSRC2:TGID_Y_EN: 0
; COMPUTE_PGM_RSRC2:TGID_Z_EN: 0
; COMPUTE_PGM_RSRC2:TIDIG_COMP_CNT: 0
	.text
	.p2alignl 7, 3214868480
	.fill 96, 4, 3214868480
	.type	_ZL31d_xorwow_sequence_jump_matrices,@object ; @_ZL31d_xorwow_sequence_jump_matrices
	.section	.rodata,"a",@progbits
	.p2align	4, 0x0
_ZL31d_xorwow_sequence_jump_matrices:
	.long	850664906                       ; 0x32b41dca
	.long	2293210629                      ; 0x88af9e05
	.long	1517805917                      ; 0x5a77e15d
	;; [unrolled: 1-line block ×4, first 2 shown]
	.long	645388200                       ; 0x2677d7a8
	.long	824349799                       ; 0x31229467
	.long	3517232886                      ; 0xd1a4b6f6
	.long	4075591755                      ; 0xf2ec984b
	;; [unrolled: 1-line block ×6, first 2 shown]
	.long	53649761                        ; 0x332a161
	.long	2817264826                      ; 0xa7ec0cba
	.long	3159462529                      ; 0xbc519281
	;; [unrolled: 1-line block ×3, first 2 shown]
	.long	950025444                       ; 0x38a03ce4
	.long	3095510002                      ; 0xb881bbf2
	.long	4080567211                      ; 0xf33883ab
	;; [unrolled: 1-line block ×14, first 2 shown]
	.long	515777663                       ; 0x1ebe247f
	.long	3396785394                      ; 0xca76d4f2
	.long	1832603711                      ; 0x6d3b503f
	;; [unrolled: 1-line block ×5, first 2 shown]
	.long	789578337                       ; 0x2f100261
	.long	337961173                       ; 0x1424e0d5
	.long	1359089498                      ; 0x51020f5a
	.long	2249086205                      ; 0x860e54fd
	;; [unrolled: 1-line block ×3, first 2 shown]
	.long	862571348                       ; 0x3369cb54
	.long	528120760                       ; 0x1f7a7bb8
	.long	1265685672                      ; 0x4b70d4a8
	.long	1970052076                      ; 0x756c9bec
	;; [unrolled: 1-line block ×4, first 2 shown]
	.long	312171257                       ; 0x129b5af9
	.long	1360991400                      ; 0x511f14a8
	.long	1994321680                      ; 0x76deef10
	;; [unrolled: 1-line block ×6, first 2 shown]
	.long	182726833                       ; 0xae430b1
	.long	590204372                       ; 0x232dcdd4
	.long	1904496495                      ; 0x71844f6f
	.long	2545607041                      ; 0x97bae181
	;; [unrolled: 1-line block ×18, first 2 shown]
	.long	39991274                        ; 0x26237ea
	.long	2024323584                      ; 0x78a8ba00
	.long	3795072940                      ; 0xe23437ac
	;; [unrolled: 1-line block ×3, first 2 shown]
	.long	443099203                       ; 0x1a692843
	.long	643536212                       ; 0x265b9554
	.long	1919517328                      ; 0x72698290
	.long	3931285769                      ; 0xea52a909
	.long	427935569                       ; 0x1981c751
	.long	276421624                       ; 0x1079dbf8
	.long	2492081750                      ; 0x948a2656
	.long	262729512                       ; 0xfa8ef28
	.long	3088549877                      ; 0xb81787f5
	.long	2922650665                      ; 0xae341c29
	;; [unrolled: 1-line block ×4, first 2 shown]
	.long	842575914                       ; 0x3238b02a
	.long	1460435650                      ; 0x570c7ac2
	.long	3050522190                      ; 0xb5d3464e
	;; [unrolled: 1-line block ×12, first 2 shown]
	.long	437451803                       ; 0x1a12fc1b
	.long	677924906                       ; 0x2868502a
	;; [unrolled: 1-line block ×3, first 2 shown]
	.long	3940574372                      ; 0xeae064a4
	.long	687640291                       ; 0x28fc8ee3
	.long	3488484529                      ; 0xcfee0cb1
	.long	470218446                       ; 0x1c06f6ce
	.long	1092571016                      ; 0x411f4f88
	.long	1537938503                      ; 0x5bab1447
	;; [unrolled: 1-line block ×3, first 2 shown]
	.long	611300083                       ; 0x246fb2f3
	.long	3809285994                      ; 0xe30d176a
	.long	3975678726                      ; 0xecf80b06
	.long	925845389                       ; 0x372f478d
	.long	2514775760                      ; 0x95e46ed0
	.long	2859302390                      ; 0xaa6d7df6
	;; [unrolled: 1-line block ×3, first 2 shown]
	.long	993285307                       ; 0x3b3454bb
	.long	164095287                       ; 0x9c7e537
	.long	3736193671                      ; 0xdeb1ca87
	.long	2078946336                      ; 0x7bea3420
	;; [unrolled: 1-line block ×8, first 2 shown]
	.long	661495122                       ; 0x276d9d52
	.long	2217907395                      ; 0x843294c3
	.long	2795045321                      ; 0xa69901c9
	;; [unrolled: 1-line block ×4, first 2 shown]
	.long	351314168                       ; 0x14f0a0f8
	.long	1902476749                      ; 0x71657dcd
	.long	1914974334                      ; 0x7224307e
	;; [unrolled: 1-line block ×7, first 2 shown]
	.long	793441242                       ; 0x2f4af3da
	.long	3281524559                      ; 0xc398174f
	.long	296088733                       ; 0x11a5f49d
	.long	487851702                       ; 0x1d1406b6
	;; [unrolled: 1-line block ×3, first 2 shown]
	.long	1388727135                      ; 0x52c64b5f
	.long	1705533557                      ; 0x65a86075
	;; [unrolled: 1-line block ×3, first 2 shown]
	.long	399729516                       ; 0x17d3636c
	.long	1355829467                      ; 0x50d050db
	.long	291276309                       ; 0x115c8615
	.long	421164833                       ; 0x191a7721
	.long	1318404599                      ; 0x4e9541f7
	.long	2064519128                      ; 0x7b0e0fd8
	;; [unrolled: 1-line block ×4, first 2 shown]
	.long	850664906                       ; 0x32b41dca
	.long	2293210629                      ; 0x88af9e05
	.long	1517805917                      ; 0x5a77e15d
	;; [unrolled: 1-line block ×4, first 2 shown]
	.long	645388200                       ; 0x2677d7a8
	.long	824349799                       ; 0x31229467
	.long	3517232886                      ; 0xd1a4b6f6
	.long	4075591755                      ; 0xf2ec984b
	;; [unrolled: 1-line block ×6, first 2 shown]
	.long	53649761                        ; 0x332a161
	.long	1417544262                      ; 0x547e0246
	.long	3159462529                      ; 0xbc519281
	;; [unrolled: 1-line block ×3, first 2 shown]
	.long	950025444                       ; 0x38a03ce4
	.long	3095510002                      ; 0xb881bbf2
	.long	1908900347                      ; 0x71c781fb
	.long	4111078399                      ; 0xf50a13ff
	.long	3241719305                      ; 0xc138b609
	.long	2788212779                      ; 0xa630c02b
	.long	4256963770                      ; 0xfdbc1cba
	.long	3750258343                      ; 0xdf8866a7
	.long	4190211142                      ; 0xf9c18c46
	.long	1420776905                      ; 0x54af55c9
	.long	3780537969                      ; 0xe1566e71
	.long	1102912875                      ; 0x41bd1d6b
	.long	1690550                         ; 0x19cbb6
	.long	3354905256                      ; 0xc7f7caa8
	.long	2519610308                      ; 0x962e33c4
	.long	515777663                       ; 0x1ebe247f
	.long	3396785394                      ; 0xca76d4f2
	.long	2658162202                      ; 0x9e70561a
	;; [unrolled: 1-line block ×5, first 2 shown]
	.long	789578337                       ; 0x2f100261
	.long	189880016                       ; 0xb5156d0
	.long	1359089498                      ; 0x51020f5a
	.long	2249086205                      ; 0x860e54fd
	;; [unrolled: 1-line block ×3, first 2 shown]
	.long	862571348                       ; 0x3369cb54
	.long	998719835                       ; 0x3b87415b
	.long	1265685672                      ; 0x4b70d4a8
	.long	1970052076                      ; 0x756c9bec
	;; [unrolled: 1-line block ×11, first 2 shown]
	.long	182726833                       ; 0xae430b1
	.long	590204372                       ; 0x232dcdd4
	.long	1904496495                      ; 0x71844f6f
	.long	110719262                       ; 0x699711e
	.long	3697978033                      ; 0xdc6aaab1
	.long	1084030545                      ; 0x409cfe51
	;; [unrolled: 1-line block ×16, first 2 shown]
	.long	39991274                        ; 0x26237ea
	.long	2024323584                      ; 0x78a8ba00
	.long	3795072940                      ; 0xe23437ac
	;; [unrolled: 1-line block ×3, first 2 shown]
	.long	443099203                       ; 0x1a692843
	.long	643536212                       ; 0x265b9554
	.long	1919517328                      ; 0x72698290
	.long	3931285769                      ; 0xea52a909
	;; [unrolled: 1-line block ×3, first 2 shown]
	.long	276421624                       ; 0x1079dbf8
	.long	2492081750                      ; 0x948a2656
	.long	262729512                       ; 0xfa8ef28
	.long	3088549877                      ; 0xb81787f5
	.long	2817867653                      ; 0xa7f53f85
	;; [unrolled: 1-line block ×4, first 2 shown]
	.long	842575914                       ; 0x3238b02a
	.long	1460435650                      ; 0x570c7ac2
	.long	2276077438                      ; 0x87aa2f7e
	;; [unrolled: 1-line block ×6, first 2 shown]
	.long	130551477                       ; 0x7c80eb5
	.long	2897029415                      ; 0xacad2927
	.long	2747033756                      ; 0xa3bc689c
	;; [unrolled: 1-line block ×4, first 2 shown]
	.long	804565809                       ; 0x2ff4b331
	.long	437451803                       ; 0x1a12fc1b
	;; [unrolled: 1-line block ×4, first 2 shown]
	.long	3940574372                      ; 0xeae064a4
	.long	2446610749                      ; 0x91d4513d
	;; [unrolled: 1-line block ×3, first 2 shown]
	.long	470218446                       ; 0x1c06f6ce
	.long	1092571016                      ; 0x411f4f88
	.long	1537938503                      ; 0x5bab1447
	.long	1502147484                      ; 0x5988f39c
	.long	611300083                       ; 0x246fb2f3
	.long	3809285994                      ; 0xe30d176a
	.long	3975678726                      ; 0xecf80b06
	.long	925845389                       ; 0x372f478d
	.long	872826112                       ; 0x34064500
	.long	2859302390                      ; 0xaa6d7df6
	.long	2761919483                      ; 0xa49f8bfb
	.long	993285307                       ; 0x3b3454bb
	.long	164095287                       ; 0x9c7e537
	.long	3901654538                      ; 0xe88e860a
	.long	2078946336                      ; 0x7bea3420
	;; [unrolled: 1-line block ×5, first 2 shown]
	.long	704759480                       ; 0x2a01c6b8
	.long	2484428922                      ; 0x9415607a
	.long	1833969372                      ; 0x6d5026dc
	.long	661495122                       ; 0x276d9d52
	.long	2217907395                      ; 0x843294c3
	.long	3287413716                      ; 0xc3f1f3d4
	;; [unrolled: 1-line block ×4, first 2 shown]
	.long	351314168                       ; 0x14f0a0f8
	.long	1902476749                      ; 0x71657dcd
	.long	2033316109                      ; 0x7931f10d
	;; [unrolled: 1-line block ×7, first 2 shown]
	.long	793441242                       ; 0x2f4af3da
	.long	3281524559                      ; 0xc398174f
	.long	296088733                       ; 0x11a5f49d
	.long	487851702                       ; 0x1d1406b6
	;; [unrolled: 1-line block ×3, first 2 shown]
	.long	1388727135                      ; 0x52c64b5f
	.long	1705533557                      ; 0x65a86075
	;; [unrolled: 1-line block ×3, first 2 shown]
	.long	399729516                       ; 0x17d3636c
	.long	1660074989                      ; 0x62f2bbed
	.long	291276309                       ; 0x115c8615
	.long	421164833                       ; 0x191a7721
	.long	1318404599                      ; 0x4e9541f7
	.long	2064519128                      ; 0x7b0e0fd8
	;; [unrolled: 1-line block ×4, first 2 shown]
	.long	850664906                       ; 0x32b41dca
	.long	2293210629                      ; 0x88af9e05
	.long	1517805917                      ; 0x5a77e15d
	.long	335452425                       ; 0x13fe9909
	.long	3847487204                      ; 0xe553fee4
	.long	645388200                       ; 0x2677d7a8
	.long	824349799                       ; 0x31229467
	.long	3517232886                      ; 0xd1a4b6f6
	.long	954487767                       ; 0x38e453d7
	.long	2755872609                      ; 0xa4434761
	.long	4249786064                      ; 0xfd4e96d0
	;; [unrolled: 1-line block ×8, first 2 shown]
	.long	950025444                       ; 0x38a03ce4
	.long	324339737                       ; 0x13550819
	.long	1908900347                      ; 0x71c781fb
	.long	4111078399                      ; 0xf50a13ff
	;; [unrolled: 1-line block ×10, first 2 shown]
	.long	1690550                         ; 0x19cbb6
	.long	3354905256                      ; 0xc7f7caa8
	.long	2519610308                      ; 0x962e33c4
	.long	515777663                       ; 0x1ebe247f
	.long	3758156132                      ; 0xe000e964
	.long	2658162202                      ; 0x9e70561a
	;; [unrolled: 1-line block ×5, first 2 shown]
	.long	844149171                       ; 0x3250b1b3
	.long	189880016                       ; 0xb5156d0
	.long	1359089498                      ; 0x51020f5a
	.long	2249086205                      ; 0x860e54fd
	;; [unrolled: 1-line block ×4, first 2 shown]
	.long	998719835                       ; 0x3b87415b
	.long	1265685672                      ; 0x4b70d4a8
	.long	1970052076                      ; 0x756c9bec
	;; [unrolled: 1-line block ×8, first 2 shown]
	.long	714016907                       ; 0x2a8f088b
	.long	2283905032                      ; 0x8821a008
	.long	2217962701                      ; 0x84336ccd
	.long	182726833                       ; 0xae430b1
	.long	590204372                       ; 0x232dcdd4
	.long	2151450260                      ; 0x803c8694
	.long	110719262                       ; 0x699711e
	.long	3697978033                      ; 0xdc6aaab1
	.long	1084030545                      ; 0x409cfe51
	;; [unrolled: 1-line block ×3, first 2 shown]
	.long	767772303                       ; 0x2dc3468f
	.long	4133333579                      ; 0xf65daa4b
	.long	1069092002                      ; 0x3fb90ca2
	;; [unrolled: 1-line block ×4, first 2 shown]
	.long	42955292                        ; 0x28f721c
	.long	3629845331                      ; 0xd85b0b53
	.long	1464127305                      ; 0x5744cf49
	;; [unrolled: 1-line block ×7, first 2 shown]
	.long	39991274                        ; 0x26237ea
	.long	2024323584                      ; 0x78a8ba00
	.long	3142424684                      ; 0xbb4d986c
	;; [unrolled: 1-line block ×3, first 2 shown]
	.long	443099203                       ; 0x1a692843
	.long	643536212                       ; 0x265b9554
	.long	1919517328                      ; 0x72698290
	.long	918511196                       ; 0x36bf5e5c
	.long	2755167056                      ; 0xa4388350
	;; [unrolled: 2-line block ×4, first 2 shown]
	.long	2817867653                      ; 0xa7f53f85
	.long	1816283755                      ; 0x6c424a6b
	;; [unrolled: 1-line block ×3, first 2 shown]
	.long	842575914                       ; 0x3238b02a
	.long	1425765936                      ; 0x54fb7630
	.long	2276077438                      ; 0x87aa2f7e
	;; [unrolled: 1-line block ×6, first 2 shown]
	.long	130551477                       ; 0x7c80eb5
	.long	2897029415                      ; 0xacad2927
	.long	2747033756                      ; 0xa3bc689c
	;; [unrolled: 1-line block ×4, first 2 shown]
	.long	804565809                       ; 0x2ff4b331
	.long	437451803                       ; 0x1a12fc1b
	;; [unrolled: 1-line block ×4, first 2 shown]
	.long	3419189841                      ; 0xcbccb251
	.long	2446610749                      ; 0x91d4513d
	.long	3488484529                      ; 0xcfee0cb1
	.long	470218446                       ; 0x1c06f6ce
	.long	1092571016                      ; 0x411f4f88
	.long	3272535988                      ; 0xc30eefb4
	.long	1502147484                      ; 0x5988f39c
	.long	611300083                       ; 0x246fb2f3
	;; [unrolled: 4-line block ×3, first 2 shown]
	.long	2859302390                      ; 0xaa6d7df6
	.long	2761919483                      ; 0xa49f8bfb
	.long	993285307                       ; 0x3b3454bb
	.long	1434560128                      ; 0x5581a680
	.long	3901654538                      ; 0xe88e860a
	;; [unrolled: 1-line block ×6, first 2 shown]
	.long	704759480                       ; 0x2a01c6b8
	.long	2484428922                      ; 0x9415607a
	.long	1833969372                      ; 0x6d5026dc
	.long	661495122                       ; 0x276d9d52
	.long	503878844                       ; 0x1e0894bc
	.long	3287413716                      ; 0xc3f1f3d4
	.long	2950835531                      ; 0xafe22d4b
	;; [unrolled: 1-line block ×3, first 2 shown]
	.long	351314168                       ; 0x14f0a0f8
	.long	4131886119                      ; 0xf6479427
	.long	2033316109                      ; 0x7931f10d
	;; [unrolled: 1-line block ×5, first 2 shown]
	.long	237900321                       ; 0xe2e1221
	.long	1316780684                      ; 0x4e7c7a8c
	.long	793441242                       ; 0x2f4af3da
	.long	3281524559                      ; 0xc398174f
	;; [unrolled: 2-line block ×4, first 2 shown]
	.long	1705533557                      ; 0x65a86075
	.long	3557800292                      ; 0xd40fb964
	;; [unrolled: 1-line block ×4, first 2 shown]
	.long	291276309                       ; 0x115c8615
	.long	421164833                       ; 0x191a7721
	.long	1318404599                      ; 0x4e9541f7
	.long	964731488                       ; 0x3980a260
	.long	3156334112                      ; 0xbc21d620
	.long	2076623594                      ; 0x7bc6c2ea
	.long	850664906                       ; 0x32b41dca
	.long	2293210629                      ; 0x88af9e05
	;; [unrolled: 3-line block ×3, first 2 shown]
	.long	645388200                       ; 0x2677d7a8
	.long	824349799                       ; 0x31229467
	.long	2789953706                      ; 0xa64b50aa
	.long	954487767                       ; 0x38e453d7
	.long	2755872609                      ; 0xa4434761
	.long	4249786064                      ; 0xfd4e96d0
	;; [unrolled: 1-line block ×8, first 2 shown]
	.long	624060530                       ; 0x25326872
	.long	324339737                       ; 0x13550819
	.long	1908900347                      ; 0x71c781fb
	.long	4111078399                      ; 0xf50a13ff
	;; [unrolled: 1-line block ×10, first 2 shown]
	.long	1690550                         ; 0x19cbb6
	.long	3354905256                      ; 0xc7f7caa8
	.long	2519610308                      ; 0x962e33c4
	;; [unrolled: 1-line block ×8, first 2 shown]
	.long	844149171                       ; 0x3250b1b3
	.long	189880016                       ; 0xb5156d0
	.long	1359089498                      ; 0x51020f5a
	.long	2249086205                      ; 0x860e54fd
	;; [unrolled: 1-line block ×4, first 2 shown]
	.long	998719835                       ; 0x3b87415b
	.long	1265685672                      ; 0x4b70d4a8
	.long	1970052076                      ; 0x756c9bec
	;; [unrolled: 1-line block ×8, first 2 shown]
	.long	714016907                       ; 0x2a8f088b
	.long	2283905032                      ; 0x8821a008
	.long	2217962701                      ; 0x84336ccd
	.long	182726833                       ; 0xae430b1
	.long	1734988742                      ; 0x6769d3c6
	.long	2151450260                      ; 0x803c8694
	;; [unrolled: 3-line block ×3, first 2 shown]
	.long	159906818                       ; 0x987fc02
	.long	767772303                       ; 0x2dc3468f
	.long	4133333579                      ; 0xf65daa4b
	.long	1069092002                      ; 0x3fb90ca2
	;; [unrolled: 1-line block ×4, first 2 shown]
	.long	42955292                        ; 0x28f721c
	.long	3629845331                      ; 0xd85b0b53
	.long	1464127305                      ; 0x5744cf49
	;; [unrolled: 1-line block ×3, first 2 shown]
	.long	987794861                       ; 0x3ae08dad
	.long	3222189776                      ; 0xc00eb6d0
	.long	3256744141                      ; 0xc21df8cd
	;; [unrolled: 1-line block ×3, first 2 shown]
	.long	39991274                        ; 0x26237ea
	.long	3644076751                      ; 0xd93432cf
	.long	3142424684                      ; 0xbb4d986c
	;; [unrolled: 1-line block ×3, first 2 shown]
	.long	443099203                       ; 0x1a692843
	.long	643536212                       ; 0x265b9554
	.long	1487589384                      ; 0x58aad008
	.long	918511196                       ; 0x36bf5e5c
	.long	2755167056                      ; 0xa4388350
	;; [unrolled: 2-line block ×4, first 2 shown]
	.long	2817867653                      ; 0xa7f53f85
	.long	1816283755                      ; 0x6c424a6b
	;; [unrolled: 1-line block ×10, first 2 shown]
	.long	130551477                       ; 0x7c80eb5
	.long	2897029415                      ; 0xacad2927
	.long	2747033756                      ; 0xa3bc689c
	;; [unrolled: 1-line block ×4, first 2 shown]
	.long	804565809                       ; 0x2ff4b331
	.long	437451803                       ; 0x1a12fc1b
	;; [unrolled: 1-line block ×3, first 2 shown]
	.long	2749065512                      ; 0xa3db6928
	.long	3419189841                      ; 0xcbccb251
	.long	2446610749                      ; 0x91d4513d
	.long	3488484529                      ; 0xcfee0cb1
	.long	470218446                       ; 0x1c06f6ce
	.long	290444026                       ; 0x114fd2fa
	.long	3272535988                      ; 0xc30eefb4
	.long	1502147484                      ; 0x5988f39c
	.long	611300083                       ; 0x246fb2f3
	.long	3809285994                      ; 0xe30d176a
	.long	2546040767                      ; 0x97c17fbf
	;; [unrolled: 1-line block ×3, first 2 shown]
	.long	872826112                       ; 0x34064500
	.long	2859302390                      ; 0xaa6d7df6
	.long	2761919483                      ; 0xa49f8bfb
	;; [unrolled: 1-line block ×9, first 2 shown]
	.long	704759480                       ; 0x2a01c6b8
	.long	2484428922                      ; 0x9415607a
	.long	1833969372                      ; 0x6d5026dc
	;; [unrolled: 1-line block ×3, first 2 shown]
	.long	503878844                       ; 0x1e0894bc
	.long	3287413716                      ; 0xc3f1f3d4
	.long	2950835531                      ; 0xafe22d4b
	;; [unrolled: 1-line block ×9, first 2 shown]
	.long	237900321                       ; 0xe2e1221
	.long	1316780684                      ; 0x4e7c7a8c
	.long	793441242                       ; 0x2f4af3da
	.long	3281524559                      ; 0xc398174f
	.long	1273427916                      ; 0x4be6f7cc
	;; [unrolled: 1-line block ×3, first 2 shown]
	.long	314311643                       ; 0x12bc03db
	.long	1388727135                      ; 0x52c64b5f
	.long	1705533557                      ; 0x65a86075
	;; [unrolled: 1-line block ×5, first 2 shown]
	.long	291276309                       ; 0x115c8615
	.long	421164833                       ; 0x191a7721
	.long	3884815658                      ; 0xe78d952a
	.long	3088049345                      ; 0xb80fe4c1
	;; [unrolled: 1-line block ×11, first 2 shown]
	.long	870101866                       ; 0x33dcb36a
	.long	2139291021                      ; 0x7f82fd8d
	.long	406996656                       ; 0x184246b0
	.long	255568268                       ; 0xf3ba98c
	;; [unrolled: 1-line block ×5, first 2 shown]
	.long	3753233375                      ; 0xdfb5cbdf
	.long	3015215223                      ; 0xb3b88877
	.long	1711461259                      ; 0x6602d38b
	.long	3241363282                      ; 0xc1334752
	.long	2125360928                      ; 0x7eae6f20
	.long	2493601640                      ; 0x94a15768
	.long	2350228245                      ; 0x8c15a315
	.long	3434627328                      ; 0xccb84100
	.long	2095642963                      ; 0x7ce8f953
	.long	3360932494                      ; 0xc853c28e
	.long	3287396242                      ; 0xc3f1af92
	.long	4070512427                      ; 0xf29f172b
	.long	3415702664                      ; 0xcb977c88
	.long	1958354224                      ; 0x74ba1d30
	.long	3280206940                      ; 0xc383fc5c
	.long	3929504236                      ; 0xea3779ec
	.long	3390499817                      ; 0xca16ebe9
	.long	4144225735                      ; 0xf703ddc7
	.long	3621750606                      ; 0xd7df874e
	.long	3205006592                      ; 0xbf088500
	.long	3495743785                      ; 0xd05cd129
	.long	269239326                       ; 0x100c441e
	.long	2181299371                      ; 0x8203fcab
	.long	2898796651                      ; 0xacc8206b
	;; [unrolled: 1-line block ×5, first 2 shown]
	.long	949553433                       ; 0x38990919
	.long	3289670000                      ; 0xc4146170
	.long	3559525307                      ; 0xd42a0bbb
	;; [unrolled: 1-line block ×4, first 2 shown]
	.long	955626393                       ; 0x38f5b399
	.long	1790865381                      ; 0x6abe6fe5
	.long	699223558                       ; 0x29ad4e06
	.long	3889584301                      ; 0xe7d658ad
	.long	1020750250                      ; 0x3cd769aa
	;; [unrolled: 1-line block ×6, first 2 shown]
	.long	766386910                       ; 0x2dae22de
	.long	4265157386                      ; 0xfe39230a
	.long	89139307                        ; 0x550286b
	.long	2099710177                      ; 0x7d2708e1
	.long	1012450874                      ; 0x3c58c63a
	;; [unrolled: 1-line block ×4, first 2 shown]
	.long	767450812                       ; 0x2dbe5ebc
	.long	654474783                       ; 0x27027e1f
	.long	4265293038                      ; 0xfe3b34ee
	.long	4041215389                      ; 0xf0e00d9d
	;; [unrolled: 1-line block ×7, first 2 shown]
	.long	403151111                       ; 0x18079907
	.long	1400693138                      ; 0x537ce192
	.long	4255050194                      ; 0xfd9ee9d2
	.long	755369466                       ; 0x2d0605fa
	.long	2325764302                      ; 0x8aa058ce
	.long	2617301159                      ; 0x9c00d8a7
	;; [unrolled: 1-line block ×7, first 2 shown]
	.long	662660652                       ; 0x277f662c
	.long	795140282                       ; 0x2f64e0ba
	;; [unrolled: 1-line block ×4, first 2 shown]
	.long	1179976369                      ; 0x465502b1
	.long	2212548232                      ; 0x83e0ce88
	.long	755708248                       ; 0x2d0b3158
	.long	1034682071                      ; 0x3dabfed7
	.long	899950902                       ; 0x35a42936
	.long	1906046264                      ; 0x719bf538
	.long	1861009040                      ; 0x6eecbe90
	.long	310711525                       ; 0x128514e5
	.long	920739741                       ; 0x36e15f9d
	.long	2322414272                      ; 0x8a6d3ac0
	.long	3179236470                      ; 0xbd7f4c76
	.long	81822135                        ; 0x4e081b7
	.long	4111390320                      ; 0xf50ed670
	.long	1800166783                      ; 0x6b4c5d7f
	.long	112253014                       ; 0x6b0d856
	.long	688771939                       ; 0x290dd363
	.long	1050990794                      ; 0x3ea4d8ca
	.long	3124647483                      ; 0xba3e563b
	.long	287052171                       ; 0x111c118b
	.long	1363630156                      ; 0x5147584c
	.long	3447798279                      ; 0xcd813a07
	;; [unrolled: 1-line block ×7, first 2 shown]
	.long	680713285                       ; 0x2892dc45
	.long	2748212230                      ; 0xa3ce6406
	.long	568610527                       ; 0x21e44edf
	.long	3434965538                      ; 0xccbd6a22
	.long	1114942930                      ; 0x4274add2
	.long	2835858745                      ; 0xa907c539
	.long	2575992250                      ; 0x998a85ba
	.long	3243355150                      ; 0xc151ac0e
	.long	2127580225                      ; 0x7ed04c41
	.long	1855934450                      ; 0x6e9f4ff2
	.long	3915941751                      ; 0xe9688777
	.long	2228679809                      ; 0x84d6f481
	.long	1514780124                      ; 0x5a49b5dc
	.long	1506688039                      ; 0x59ce3c27
	.long	1033083295                      ; 0x3d93999f
	.long	793807083                       ; 0x2f5088eb
	.long	1120681149                      ; 0x42cc3cbd
	.long	4105670165                      ; 0xf4b78e15
	;; [unrolled: 1-line block ×11, first 2 shown]
	.long	367828409                       ; 0x15ec9db9
	.long	3198272513                      ; 0xbea1c401
	.long	1941316667                      ; 0x73b6243b
	.long	943707510                       ; 0x383fd576
	.long	907134807                       ; 0x3611c757
	.long	2020457947                      ; 0x786dbddb
	.long	1462193665                      ; 0x57274e01
	;; [unrolled: 1-line block ×30, first 2 shown]
	.long	49347923                        ; 0x2f0fd53
	.long	97526506                        ; 0x5d022ea
	.long	2566932710                      ; 0x990048e6
	.long	1566181275                      ; 0x5d5a079b
	;; [unrolled: 1-line block ×3, first 2 shown]
	.long	578401670                       ; 0x2279b586
	.long	1499229308                      ; 0x595c6c7c
	.long	2581732444                      ; 0x99e21c5c
	.long	279715551                       ; 0x10ac1edf
	.long	809690877                       ; 0x3042e6fd
	.long	1438444015                      ; 0x55bce9ef
	.long	878935323                       ; 0x34637d1b
	.long	1495277039                      ; 0x59201def
	.long	3417305339                      ; 0xcbaff0fb
	;; [unrolled: 1-line block ×4, first 2 shown]
	.long	603749086                       ; 0x23fc7ade
	.long	2370669734                      ; 0x8d4d8ca6
	.long	391683868                       ; 0x17589f1c
	.long	3933465331                      ; 0xea73eaf3
	.long	2884128106                      ; 0xabe84d6a
	;; [unrolled: 1-line block ×6, first 2 shown]
	.long	218104493                       ; 0xd0002ad
	.long	368652174                       ; 0x15f92f8e
	.long	1998600344                      ; 0x77203898
	.long	1109346044                      ; 0x421f46fc
	;; [unrolled: 1-line block ×3, first 2 shown]
	.long	415435111                       ; 0x18c30967
	.long	91393686                        ; 0x5728e96
	.long	2536620737                      ; 0x9731c2c1
	.long	1440068573                      ; 0x55d5b3dd
	.long	481874870                       ; 0x1cb8d3b6
	.long	142128108                       ; 0x878b3ec
	;; [unrolled: 1-line block ×3, first 2 shown]
	.long	2077118779                      ; 0x7bce513b
	.long	2858045339                      ; 0xaa5a4f9b
	;; [unrolled: 1-line block ×3, first 2 shown]
	.long	115593872                       ; 0x6e3d290
	.long	1364244587                      ; 0x5150b86b
	.long	3550167006                      ; 0xd39b3fde
	;; [unrolled: 1-line block ×5, first 2 shown]
	.long	248732306                       ; 0xed35a92
	.long	1412607307                      ; 0x5432ad4b
	.long	4081166331                      ; 0xf341a7fb
	.long	154438218                       ; 0x9348a4a
	.long	1652901877                      ; 0x628547f5
	.long	3932533490                      ; 0xea65b2f2
	;; [unrolled: 1-line block ×8, first 2 shown]
	.long	793851407                       ; 0x2f51360f
	.long	507785167                       ; 0x1e442fcf
	;; [unrolled: 1-line block ×3, first 2 shown]
	.long	4060700051                      ; 0xf2095d93
	.long	3291978358                      ; 0xc4379a76
	;; [unrolled: 1-line block ×4, first 2 shown]
	.long	450747961                       ; 0x1addde39
	.long	2951067700                      ; 0xafe5b834
	.long	2706009093                      ; 0xa14a6c05
	;; [unrolled: 1-line block ×5, first 2 shown]
	.long	573420740                       ; 0x222db4c4
	.long	4269115622                      ; 0xfe7588e6
	.long	2180305819                      ; 0x81f4d39b
	;; [unrolled: 1-line block ×3, first 2 shown]
	.long	716649335                       ; 0x2ab73377
	.long	3875715683                      ; 0xe702ba63
	.long	853428184                       ; 0x32de47d8
	.long	2436760738                      ; 0x913e04a2
	.long	4190071217                      ; 0xf9bf69b1
	;; [unrolled: 1-line block ×3, first 2 shown]
	.long	540698101                       ; 0x203a65f5
	.long	4082489821                      ; 0xf355d9dd
	.long	741976046                       ; 0x2c39a7ee
	.long	267559495                       ; 0xff2a247
	.long	1591532642                      ; 0x5edcdc62
	.long	2500610323                      ; 0x950c4913
	.long	3203248679                      ; 0xbeedb227
	.long	147312102                       ; 0x8c7cde6
	.long	2772368222                      ; 0xa53efb5e
	.long	1412987047                      ; 0x543878a7
	.long	2295185573                      ; 0x88cdc0a5
	.long	1932341300                      ; 0x732d3034
	.long	898396308                       ; 0x358c7094
	.long	1837129999                      ; 0x6d80610f
	;; [unrolled: 5-line block ×3, first 2 shown]
	.long	757801450                       ; 0x2d2b21ea
	.long	3752353732                      ; 0xdfa85fc4
	.long	2745818074                      ; 0xa3a9dbda
	;; [unrolled: 1-line block ×4, first 2 shown]
	.long	223728071                       ; 0xd55d1c7
	.long	2169947402                      ; 0x8156c50a
	.long	1338125300                      ; 0x4fc22bf4
	;; [unrolled: 1-line block ×5, first 2 shown]
	.long	862746036                       ; 0x336c75b4
	.long	3577092599                      ; 0xd53619f7
	.long	627103363                       ; 0x2560d683
	.long	552173564                       ; 0x20e97ffc
	.long	4142604459                      ; 0xf6eb20ab
	.long	2310329406                      ; 0x89b4d43e
	.long	583522272                       ; 0x22c7d7e0
	.long	189323282                       ; 0xb48d812
	.long	1217612313                      ; 0x48934a19
	.long	73550248                        ; 0x46249a8
	.long	2434692829                      ; 0x911e76dd
	.long	2757269706                      ; 0xa45898ca
	;; [unrolled: 1-line block ×14, first 2 shown]
	.long	522940594                       ; 0x1f2b70b2
	.long	2690374983                      ; 0xa05bdd47
	.long	2613871529                      ; 0x9bcc83a9
	;; [unrolled: 1-line block ×4, first 2 shown]
	.long	534554747                       ; 0x1fdca87b
	.long	1930852049                      ; 0x731676d1
	.long	2264349344                      ; 0x86f73aa0
	;; [unrolled: 1-line block ×6, first 2 shown]
	.long	75966494                        ; 0x487281e
	.long	3907378472                      ; 0xe8e5dd28
	.long	2636491350                      ; 0x9d25aa56
	;; [unrolled: 1-line block ×9, first 2 shown]
	.long	534929913                       ; 0x1fe261f9
	.long	3660102574                      ; 0xda28bbae
	.long	2030233939                      ; 0x7902e953
	;; [unrolled: 1-line block ×3, first 2 shown]
	.long	49347923                        ; 0x2f0fd53
	.long	987575186                       ; 0x3add3392
	.long	2566932710                      ; 0x990048e6
	.long	1566181275                      ; 0x5d5a079b
	;; [unrolled: 1-line block ×3, first 2 shown]
	.long	578401670                       ; 0x2279b586
	.long	3731513754                      ; 0xde6a619a
	.long	2581732444                      ; 0x99e21c5c
	.long	279715551                       ; 0x10ac1edf
	.long	809690877                       ; 0x3042e6fd
	.long	1438444015                      ; 0x55bce9ef
	.long	2185866850                      ; 0x8249ae62
	;; [unrolled: 1-line block ×8, first 2 shown]
	.long	391683868                       ; 0x17589f1c
	.long	3933465331                      ; 0xea73eaf3
	.long	2884128106                      ; 0xabe84d6a
	;; [unrolled: 1-line block ×6, first 2 shown]
	.long	218104493                       ; 0xd0002ad
	.long	2798390374                      ; 0xa6cc0c66
	.long	1998600344                      ; 0x77203898
	.long	1109346044                      ; 0x421f46fc
	.long	1716435313                      ; 0x664eb971
	.long	415435111                       ; 0x18c30967
	.long	1892535124                      ; 0x70cdcb54
	.long	2536620737                      ; 0x9731c2c1
	;; [unrolled: 1-line block ×3, first 2 shown]
	.long	481874870                       ; 0x1cb8d3b6
	.long	142128108                       ; 0x878b3ec
	;; [unrolled: 1-line block ×3, first 2 shown]
	.long	2077118779                      ; 0x7bce513b
	.long	2858045339                      ; 0xaa5a4f9b
	;; [unrolled: 1-line block ×3, first 2 shown]
	.long	115593872                       ; 0x6e3d290
	.long	2644000449                      ; 0x9d983ec1
	.long	3550167006                      ; 0xd39b3fde
	;; [unrolled: 1-line block ×8, first 2 shown]
	.long	154438218                       ; 0x9348a4a
	.long	1652901877                      ; 0x628547f5
	.long	3804911318                      ; 0xe2ca56d6
	;; [unrolled: 1-line block ×6, first 2 shown]
	.long	50297646                        ; 0x2ff7b2e
	.long	2855791484                      ; 0xaa37eb7c
	.long	793851407                       ; 0x2f51360f
	.long	507785167                       ; 0x1e442fcf
	;; [unrolled: 1-line block ×3, first 2 shown]
	.long	3324588195                      ; 0xc62930a3
	.long	3291978358                      ; 0xc4379a76
	.long	1584226715                      ; 0x5e6d619b
	.long	2546417990                      ; 0x97c74146
	.long	450747961                       ; 0x1addde39
	.long	3455625012                      ; 0xcdf8a734
	.long	2706009093                      ; 0xa14a6c05
	;; [unrolled: 1-line block ×9, first 2 shown]
	.long	716649335                       ; 0x2ab73377
	.long	2607142354                      ; 0x9b65d5d2
	.long	853428184                       ; 0x32de47d8
	.long	2436760738                      ; 0x913e04a2
	.long	4190071217                      ; 0xf9bf69b1
	.long	2754423535                      ; 0xa42d2aef
	.long	456808691                       ; 0x1b3a58f3
	.long	4082489821                      ; 0xf355d9dd
	.long	741976046                       ; 0x2c39a7ee
	.long	267559495                       ; 0xff2a247
	.long	1591532642                      ; 0x5edcdc62
	.long	2722205042                      ; 0xa2418d72
	;; [unrolled: 1-line block ×3, first 2 shown]
	.long	147312102                       ; 0x8c7cde6
	.long	2772368222                      ; 0xa53efb5e
	.long	1412987047                      ; 0x543878a7
	;; [unrolled: 1-line block ×4, first 2 shown]
	.long	898396308                       ; 0x358c7094
	.long	1837129999                      ; 0x6d80610f
	.long	3113914292                      ; 0xb99a8fb4
	.long	428616392                       ; 0x198c2ac8
	.long	3141601915                      ; 0xbb410a7b
	.long	276087167                       ; 0x1074c17f
	;; [unrolled: 2-line block ×3, first 2 shown]
	.long	963534966                       ; 0x396e6076
	.long	2745818074                      ; 0xa3a9dbda
	.long	1442953464                      ; 0x5601b8f8
	;; [unrolled: 1-line block ×3, first 2 shown]
	.long	223728071                       ; 0xd55d1c7
	.long	229039300                       ; 0xda6dcc4
	.long	1338125300                      ; 0x4fc22bf4
	.long	3642174036                      ; 0xd9172a54
	;; [unrolled: 1-line block ×4, first 2 shown]
	.long	206115203                       ; 0xc491183
	.long	3577092599                      ; 0xd53619f7
	.long	627103363                       ; 0x2560d683
	.long	552173564                       ; 0x20e97ffc
	.long	4142604459                      ; 0xf6eb20ab
	.long	1492461846                      ; 0x58f52916
	.long	583522272                       ; 0x22c7d7e0
	.long	189323282                       ; 0xb48d812
	.long	1217612313                      ; 0x48934a19
	.long	73550248                        ; 0x46249a8
	.long	3552211807                      ; 0xd3ba735f
	.long	2757269706                      ; 0xa45898ca
	;; [unrolled: 1-line block ×5, first 2 shown]
	.long	810640644                       ; 0x30516504
	.long	2632631469                      ; 0x9ceac4ad
	.long	3085332665                      ; 0xb7e670b9
	;; [unrolled: 1-line block ×4, first 2 shown]
	.long	922608790                       ; 0x36fde496
	.long	4043427793                      ; 0xf101cfd1
	.long	1803743084                      ; 0x6b82ef6c
	;; [unrolled: 1-line block ×3, first 2 shown]
	.long	522940594                       ; 0x1f2b70b2
	.long	1785093944                      ; 0x6a665f38
	.long	2613871529                      ; 0x9bcc83a9
	.long	3810037031                      ; 0xe3188d27
	.long	1765642390                      ; 0x693d9096
	.long	534554747                       ; 0x1fdca87b
	.long	3528050076                      ; 0xd249c59c
	.long	2264349344                      ; 0x86f73aa0
	;; [unrolled: 1-line block ×6, first 2 shown]
	.long	75966494                        ; 0x487281e
	.long	3907378472                      ; 0xe8e5dd28
	.long	2636491350                      ; 0x9d25aa56
	;; [unrolled: 1-line block ×9, first 2 shown]
	.long	534929913                       ; 0x1fe261f9
	.long	3660102574                      ; 0xda28bbae
	.long	2030233939                      ; 0x7902e953
	;; [unrolled: 1-line block ×3, first 2 shown]
	.long	299776535                       ; 0x11de3a17
	.long	987575186                       ; 0x3add3392
	.long	2566932710                      ; 0x990048e6
	.long	1566181275                      ; 0x5d5a079b
	;; [unrolled: 1-line block ×6, first 2 shown]
	.long	279715551                       ; 0x10ac1edf
	.long	809690877                       ; 0x3042e6fd
	.long	3100791084                      ; 0xb8d2512c
	.long	2185866850                      ; 0x8249ae62
	;; [unrolled: 1-line block ×8, first 2 shown]
	.long	391683868                       ; 0x17589f1c
	.long	3933465331                      ; 0xea73eaf3
	.long	2749085130                      ; 0xa3dbb5ca
	;; [unrolled: 1-line block ×15, first 2 shown]
	.long	481874870                       ; 0x1cb8d3b6
	.long	2485033697                      ; 0x941e9ae1
	.long	329082740                       ; 0x139d6774
	.long	2077118779                      ; 0x7bce513b
	.long	2858045339                      ; 0xaa5a4f9b
	;; [unrolled: 1-line block ×12, first 2 shown]
	.long	154438218                       ; 0x9348a4a
	.long	2902622972                      ; 0xad0282fc
	.long	3804911318                      ; 0xe2ca56d6
	;; [unrolled: 1-line block ×6, first 2 shown]
	.long	50297646                        ; 0x2ff7b2e
	.long	2855791484                      ; 0xaa37eb7c
	.long	793851407                       ; 0x2f51360f
	.long	507785167                       ; 0x1e442fcf
	.long	2351826747                      ; 0x8c2e073b
	.long	3324588195                      ; 0xc62930a3
	;; [unrolled: 1-line block ×5, first 2 shown]
	.long	746876926                       ; 0x2c846ffe
	.long	3455625012                      ; 0xcdf8a734
	.long	2706009093                      ; 0xa14a6c05
	;; [unrolled: 1-line block ×11, first 2 shown]
	.long	853428184                       ; 0x32de47d8
	.long	2436760738                      ; 0x913e04a2
	.long	4190071217                      ; 0xf9bf69b1
	;; [unrolled: 1-line block ×3, first 2 shown]
	.long	456808691                       ; 0x1b3a58f3
	.long	4082489821                      ; 0xf355d9dd
	.long	741976046                       ; 0x2c39a7ee
	.long	267559495                       ; 0xff2a247
	.long	3001080633                      ; 0xb2e0db39
	.long	2722205042                      ; 0xa2418d72
	;; [unrolled: 1-line block ×3, first 2 shown]
	.long	147312102                       ; 0x8c7cde6
	.long	2772368222                      ; 0xa53efb5e
	.long	89950260                        ; 0x55c8834
	.long	1950543946                      ; 0x7442f04a
	.long	1932341300                      ; 0x732d3034
	.long	898396308                       ; 0x358c7094
	.long	1837129999                      ; 0x6d80610f
	.long	947911286                       ; 0x387ffa76
	.long	428616392                       ; 0x198c2ac8
	.long	3141601915                      ; 0xbb410a7b
	.long	276087167                       ; 0x1074c17f
	.long	1887389351                      ; 0x707f46a7
	.long	2583987247                      ; 0x9a04842f
	.long	963534966                       ; 0x396e6076
	.long	2745818074                      ; 0xa3a9dbda
	.long	1442953464                      ; 0x5601b8f8
	;; [unrolled: 1-line block ×4, first 2 shown]
	.long	229039300                       ; 0xda6dcc4
	.long	1338125300                      ; 0x4fc22bf4
	.long	3642174036                      ; 0xd9172a54
	.long	2794462634                      ; 0xa6901daa
	.long	2472155633                      ; 0x935a19f1
	.long	206115203                       ; 0xc491183
	.long	3577092599                      ; 0xd53619f7
	.long	627103363                       ; 0x2560d683
	.long	552173564                       ; 0x20e97ffc
	.long	2586882739                      ; 0x9a30b2b3
	.long	1492461846                      ; 0x58f52916
	.long	583522272                       ; 0x22c7d7e0
	.long	189323282                       ; 0xb48d812
	.long	1217612313                      ; 0x48934a19
	.long	3501549884                      ; 0xd0b5693c
	;; [unrolled: 1-line block ×6, first 2 shown]
	.long	740675778                       ; 0x2c25d0c2
	.long	810640644                       ; 0x30516504
	.long	2632631469                      ; 0x9ceac4ad
	.long	3085332665                      ; 0xb7e670b9
	;; [unrolled: 1-line block ×4, first 2 shown]
	.long	922608790                       ; 0x36fde496
	.long	4043427793                      ; 0xf101cfd1
	.long	1803743084                      ; 0x6b82ef6c
	;; [unrolled: 1-line block ×8, first 2 shown]
	.long	762472016                       ; 0x2d726650
	.long	3528050076                      ; 0xd249c59c
	.long	2264349344                      ; 0x86f73aa0
	;; [unrolled: 1-line block ×6, first 2 shown]
	.long	75966494                        ; 0x487281e
	.long	3907378472                      ; 0xe8e5dd28
	.long	2636491350                      ; 0x9d25aa56
	;; [unrolled: 1-line block ×7, first 2 shown]
	.long	915576383                       ; 0x3692963f
	.long	1280296085                      ; 0x4c4fc495
	.long	534929913                       ; 0x1fe261f9
	.long	3660102574                      ; 0xda28bbae
	.long	2030233939                      ; 0x7902e953
	.long	346368350                       ; 0x14a5295e
	.long	299776535                       ; 0x11de3a17
	;; [unrolled: 1-line block ×3, first 2 shown]
	.long	2566932710                      ; 0x990048e6
	.long	1566181275                      ; 0x5d5a079b
	;; [unrolled: 1-line block ×6, first 2 shown]
	.long	279715551                       ; 0x10ac1edf
	.long	2456894951                      ; 0x92713de7
	.long	3100791084                      ; 0xb8d2512c
	;; [unrolled: 1-line block ×9, first 2 shown]
	.long	391683868                       ; 0x17589f1c
	.long	2009676005                      ; 0x77c938e5
	.long	2749085130                      ; 0xa3dbb5ca
	;; [unrolled: 1-line block ×5, first 2 shown]
	.long	58955107                        ; 0x3839563
	.long	3352814594                      ; 0xc7d7e402
	.long	2798390374                      ; 0xa6cc0c66
	;; [unrolled: 1-line block ×11, first 2 shown]
	.long	329082740                       ; 0x139d6774
	.long	2077118779                      ; 0x7bce513b
	.long	2858045339                      ; 0xaa5a4f9b
	.long	4062921629                      ; 0xf22b439d
	.long	3837440666                      ; 0xe4bab29a
	.long	2644000449                      ; 0x9d983ec1
	.long	3550167006                      ; 0xd39b3fde
	.long	3728768059                      ; 0xde407c3b
	.long	2642133401                      ; 0x9d7bc199
	.long	1176559812                      ; 0x4620e0c4
	.long	2140118619                      ; 0x7f8f9e5b
	.long	1412607307                      ; 0x5432ad4b
	.long	4081166331                      ; 0xf341a7fb
	.long	3124905304                      ; 0xba424558
	.long	2902622972                      ; 0xad0282fc
	.long	3804911318                      ; 0xe2ca56d6
	.long	3142799969                      ; 0xbb535261
	.long	3154073676                      ; 0xbbff584c
	.long	1449454613                      ; 0x5664ec15
	.long	2403391233                      ; 0x8f40d701
	.long	50297646                        ; 0x2ff7b2e
	.long	2855791484                      ; 0xaa37eb7c
	.long	793851407                       ; 0x2f51360f
	.long	3514201526                      ; 0xd17675b6
	.long	2351826747                      ; 0x8c2e073b
	;; [unrolled: 1-line block ×6, first 2 shown]
	.long	746876926                       ; 0x2c846ffe
	.long	3455625012                      ; 0xcdf8a734
	.long	2706009093                      ; 0xa14a6c05
	;; [unrolled: 1-line block ×11, first 2 shown]
	.long	853428184                       ; 0x32de47d8
	.long	2436760738                      ; 0x913e04a2
	.long	2151617107                      ; 0x803f1253
	;; [unrolled: 1-line block ×3, first 2 shown]
	.long	456808691                       ; 0x1b3a58f3
	.long	4082489821                      ; 0xf355d9dd
	.long	741976046                       ; 0x2c39a7ee
	.long	3590081269                      ; 0xd5fc4af5
	.long	3001080633                      ; 0xb2e0db39
	;; [unrolled: 1-line block ×4, first 2 shown]
	.long	147312102                       ; 0x8c7cde6
	.long	3432947806                      ; 0xcc9ea05e
	.long	89950260                        ; 0x55c8834
	.long	1950543946                      ; 0x7442f04a
	.long	1932341300                      ; 0x732d3034
	.long	898396308                       ; 0x358c7094
	.long	3828432864                      ; 0xe4313fe0
	.long	947911286                       ; 0x387ffa76
	.long	428616392                       ; 0x198c2ac8
	.long	3141601915                      ; 0xbb410a7b
	.long	276087167                       ; 0x1074c17f
	.long	2517666433                      ; 0x96108a81
	.long	2583987247                      ; 0x9a04842f
	.long	963534966                       ; 0x396e6076
	.long	2745818074                      ; 0xa3a9dbda
	.long	1442953464                      ; 0x5601b8f8
	;; [unrolled: 1-line block ×4, first 2 shown]
	.long	229039300                       ; 0xda6dcc4
	.long	1338125300                      ; 0x4fc22bf4
	.long	3642174036                      ; 0xd9172a54
	;; [unrolled: 1-line block ×4, first 2 shown]
	.long	206115203                       ; 0xc491183
	.long	3577092599                      ; 0xd53619f7
	.long	627103363                       ; 0x2560d683
	.long	1113276084                      ; 0x425b3eb4
	.long	2586882739                      ; 0x9a30b2b3
	;; [unrolled: 1-line block ×3, first 2 shown]
	.long	583522272                       ; 0x22c7d7e0
	.long	189323282                       ; 0xb48d812
	.long	1490604990                      ; 0x58d8d3be
	.long	3501549884                      ; 0xd0b5693c
	;; [unrolled: 1-line block ×6, first 2 shown]
	.long	740675778                       ; 0x2c25d0c2
	.long	810640644                       ; 0x30516504
	.long	2632631469                      ; 0x9ceac4ad
	.long	3085332665                      ; 0xb7e670b9
	.long	755862267                       ; 0x2d0d8afb
	.long	3643289881                      ; 0xd9283119
	.long	922608790                       ; 0x36fde496
	.long	4043427793                      ; 0xf101cfd1
	.long	1803743084                      ; 0x6b82ef6c
	;; [unrolled: 1-line block ×11, first 2 shown]
	.long	863100941                       ; 0x3371e00d
	.long	3367519168                      ; 0xc8b843c0
	.long	1972623238                      ; 0x7593d786
	;; [unrolled: 1-line block ×3, first 2 shown]
	.long	604922059                       ; 0x240e60cb
	.long	3026817982                      ; 0xb46993be
	.long	1436412310                      ; 0x559de996
	;; [unrolled: 1-line block ×11, first 2 shown]
	.long	609679338                       ; 0x2456f7ea
	.long	3360835257                      ; 0xc85246b9
	.long	1372239885                      ; 0x51cab80d
	.long	638572328                       ; 0x260fd728
	.long	3806422284                      ; 0xe2e1650c
	.long	3974147336                      ; 0xece0ad08
	;; [unrolled: 1-line block ×6, first 2 shown]
	.long	409727186                       ; 0x186bf0d2
	.long	2114649178                      ; 0x7e0afc5a
	.long	687702120                       ; 0x28fd8068
	.long	2542445992                      ; 0x978aa5a8
	.long	1235991799                      ; 0x49abbcf7
	.long	460479179                       ; 0x1b725acb
	.long	2008348175                      ; 0x77b4f60f
	.long	887884478                       ; 0x34ec0abe
	.long	3942327811                      ; 0xeafb2603
	.long	2999928223                      ; 0xb2cf459f
	;; [unrolled: 1-line block ×6, first 2 shown]
	.long	76122475                        ; 0x489896b
	.long	1440527701                      ; 0x55dcb555
	.long	2006558403                      ; 0x7799a6c3
	;; [unrolled: 1-line block ×3, first 2 shown]
	.long	895899367                       ; 0x356656e7
	.long	681826913                       ; 0x28a3da61
	.long	4094701935                      ; 0xf410316f
	.long	3995413790                      ; 0xee252d1e
	.long	1027509154                      ; 0x3d3e8ba2
	.long	2264990896                      ; 0x870104b0
	.long	1938238113                      ; 0x73872aa1
	.long	213430250                       ; 0xcb8afea
	.long	222469320                       ; 0xd429cc8
	;; [unrolled: 1-line block ×3, first 2 shown]
	.long	3581538106                      ; 0xd579ef3a
	.long	492802663                       ; 0x1d5f9267
	.long	120480843                       ; 0x72e644b
	.long	1720004062                      ; 0x66852dde
	.long	1132674507                      ; 0x43833dcb
	.long	911082758                       ; 0x364e0506
	.long	2909148131                      ; 0xad6613e3
	.long	566658805                       ; 0x21c686f5
	.long	3964114445                      ; 0xec47960d
	.long	3483602509                      ; 0xcfa38e4d
	;; [unrolled: 1-line block ×3, first 2 shown]
	.long	165562604                       ; 0x9de48ec
	.long	3641830063                      ; 0xd911eaaf
	.long	2394205521                      ; 0x8eb4ad51
	.long	3404874822                      ; 0xcaf24446
	.long	1672998096                      ; 0x63b7ecd0
	.long	916151953                       ; 0x369b5e91
	.long	1141264477                      ; 0x4406505d
	.long	3171661340                      ; 0xbd0bb61c
	;; [unrolled: 1-line block ×9, first 2 shown]
	.long	51332576                        ; 0x30f45e0
	.long	1358614881                      ; 0x50fad161
	.long	1707407492                      ; 0x65c4f884
	;; [unrolled: 1-line block ×3, first 2 shown]
	.long	923357625                       ; 0x370951b9
	.long	343687395                       ; 0x147c40e3
	.long	3991339686                      ; 0xede702a6
	.long	3913575403                      ; 0xe9446beb
	.long	1267727936                      ; 0x4b8ffe40
	.long	4001357856                      ; 0xee7fe020
	.long	3820224848                      ; 0xe3b40150
	.long	2942896724                      ; 0xaf690a54
	.long	3505936742                      ; 0xd0f85966
	.long	1403285299                      ; 0x53a46f33
	.long	1992762049                      ; 0x76c722c1
	.long	567748449                       ; 0x21d72761
	.long	2202721585                      ; 0x834add31
	.long	2781324216                      ; 0xa5c7a3b8
	;; [unrolled: 1-line block ×7, first 2 shown]
	.long	540562053                       ; 0x20385285
	.long	2185198943                      ; 0x823f7d5f
	.long	3759352041                      ; 0xe01328e9
	;; [unrolled: 1-line block ×8, first 2 shown]
	.long	407290679                       ; 0x1846c337
	.long	3188103200                      ; 0xbe069820
	.long	1708016248                      ; 0x65ce4278
	.long	26848241                        ; 0x199abf1
	.long	2796711130                      ; 0xa6b26cda
	.long	3090711568                      ; 0xb8388410
	;; [unrolled: 1-line block ×6, first 2 shown]
	.long	22133454                        ; 0x151bace
	.long	4629160                         ; 0x46a2a8
	.long	3703695249                      ; 0xdcc1e791
	.long	1920151708                      ; 0x7273309c
	;; [unrolled: 1-line block ×3, first 2 shown]
	.long	130015299                       ; 0x7bfe043
	.long	3331834713                      ; 0xc697c359
	.long	1099225384                      ; 0x4184d928
	.long	689254331                       ; 0x29152fbb
	.long	1851083761                      ; 0x6e554bf1
	.long	2654970209                      ; 0x9e3fa161
	;; [unrolled: 1-line block ×7, first 2 shown]
	.long	16242889                        ; 0xf7d8c9
	.long	3545082774                      ; 0xd34dab96
	.long	1997878108                      ; 0x7715335c
	.long	777447699                       ; 0x2e56e913
	.long	4244916543                      ; 0xfd04493f
	.long	3508640253                      ; 0xd12199fd
	.long	3782278393                      ; 0xe170fcf9
	.long	2107258964                      ; 0x7d9a3854
	.long	2139074576                      ; 0x7f7fb010
	.long	1383217899                      ; 0x52723aeb
	.long	2337934322                      ; 0x8b5a0bf2
	.long	3181899620                      ; 0xbda7ef64
	.long	1285955765                      ; 0x4ca620b5
	.long	2989610020                      ; 0xb231d424
	.long	3326862146                      ; 0xc64be342
	.long	1168587380                      ; 0x45a73a74
	.long	801203532                       ; 0x2fc1654c
	.long	3020809957                      ; 0xb40de6e5
	.long	3810471203                      ; 0xe31f2d23
	.long	1017064446                      ; 0x3c9f2bfe
	.long	1595207573                      ; 0x5f14ef95
	.long	441087832                       ; 0x1a4a7758
	.long	3326746890                      ; 0xc64a210a
	.long	3294064431                      ; 0xc4576f2f
	.long	167972517                       ; 0xa030ea5
	.long	3625210015                      ; 0xd814509f
	.long	1011845006                      ; 0x3c4f878e
	;; [unrolled: 1-line block ×10, first 2 shown]
	.long	113261909                       ; 0x6c03d55
	.long	3957193232                      ; 0xebddfa10
	.long	3806115908                      ; 0xe2dcb844
	;; [unrolled: 1-line block ×8, first 2 shown]
	.long	425148945                       ; 0x19574211
	.long	1262591961                      ; 0x4b419fd9
	.long	2221781268                      ; 0x846db114
	;; [unrolled: 1-line block ×10, first 2 shown]
	.long	287099941                       ; 0x111ccc25
	.long	1290407232                      ; 0x4cea0d40
	.long	4078552287                      ; 0xf319c4df
	;; [unrolled: 1-line block ×8, first 2 shown]
	.long	343200643                       ; 0x1474d383
	.long	3189888821                      ; 0xbe21d735
	.long	4086304363                      ; 0xf3900e6b
	;; [unrolled: 1-line block ×3, first 2 shown]
	.long	259435633                       ; 0xf76ac71
	.long	2846377387                      ; 0xa9a845ab
	.long	497258846                       ; 0x1da3915e
	.long	272775541                       ; 0x10423975
	;; [unrolled: 1-line block ×3, first 2 shown]
	.long	2957688879                      ; 0xb04ac02f
	.long	2180784344                      ; 0x81fc20d8
	;; [unrolled: 1-line block ×7, first 2 shown]
	.long	596436263                       ; 0x238ce527
	.long	3255120711                      ; 0xc2053347
	.long	3248886970                      ; 0xc1a614ba
	.long	519242965                       ; 0x1ef304d5
	.long	602979109                       ; 0x23f0bb25
	.long	1619614                         ; 0x18b69e
	.long	1391563565                      ; 0x52f1932d
	.long	56262588                        ; 0x35a7fbc
	.long	1584463910                      ; 0x5e710026
	.long	1849038201                      ; 0x6e361579
	.long	728022295                       ; 0x2b64bd17
	.long	848624947                       ; 0x3294fd33
	.long	1813827408                      ; 0x6c1ccf50
	.long	428214945                       ; 0x19860aa1
	.long	1246345586                      ; 0x4a49b972
	.long	4213351865                      ; 0xfb22a5b9
	.long	168985863                       ; 0xa128507
	.long	456608054                       ; 0x1b374936
	.long	4277869380                      ; 0xfefb1b44
	.long	3886828599                      ; 0xe7ac4c37
	;; [unrolled: 1-line block ×12, first 2 shown]
	.long	831851874                       ; 0x31950d62
	.long	4285651092                      ; 0xff71d894
	.long	4224147373                      ; 0xfbc75fad
	;; [unrolled: 1-line block ×3, first 2 shown]
	.long	231954609                       ; 0xdd358b1
	.long	3118005852                      ; 0xb9d8fe5c
	.long	225508069                       ; 0xd70fae5
	.long	883105389                       ; 0x34a31e6d
	;; [unrolled: 1-line block ×3, first 2 shown]
	.long	2001356578                      ; 0x774a4722
	.long	639336670                       ; 0x261b80de
	.long	2363501707                      ; 0x8ce02c8b
	.long	3622399552                      ; 0xd7e96e40
	;; [unrolled: 1-line block ×6, first 2 shown]
	.long	425195042                       ; 0x1957f622
	.long	2441102396                      ; 0x9180443c
	.long	296426333                       ; 0x11ab1b5d
	.long	384641750                       ; 0x16ed2ad6
	.long	3559334435                      ; 0xd4272223
	.long	1757327033                      ; 0x68beaeb9
	;; [unrolled: 1-line block ×4, first 2 shown]
	.long	24777793                        ; 0x17a1441
	.long	623926105                       ; 0x25305b59
	.long	2169195923                      ; 0x814b4d93
	.long	1779396793                      ; 0x6a0f70b9
	.long	646997837                       ; 0x2690674d
	.long	1459728476                      ; 0x5701b05c
	.long	2644865980                      ; 0x9da573bc
	.long	1994581089                      ; 0x76e2e461
	.long	3956278544                      ; 0xebd00510
	.long	919592580                       ; 0x36cfde84
	.long	2153558858                      ; 0x805cb34a
	.long	2029633394                      ; 0x78f9bf72
	;; [unrolled: 5-line block ×3, first 2 shown]
	.long	605295089                       ; 0x241411f1
	.long	637470291                       ; 0x25ff0653
	;; [unrolled: 1-line block ×3, first 2 shown]
	.long	3574824693                      ; 0xd5137ef5
	.long	295866521                       ; 0x11a29099
	.long	1755035156                      ; 0x689bb614
	.long	2542341803                      ; 0x97890eab
	;; [unrolled: 1-line block ×8, first 2 shown]
	.long	101448323                       ; 0x60bfa83
	.long	3233017580                      ; 0xc0b3eeec
	.long	1793222944                      ; 0x6ae26920
	;; [unrolled: 1-line block ×3, first 2 shown]
	.long	186000900                       ; 0xb162604
	.long	803444571                       ; 0x2fe3975b
	.long	2820254958                      ; 0xa819acee
	.long	2009384608                      ; 0x77c4c6a0
	;; [unrolled: 1-line block ×4, first 2 shown]
	.long	633608665                       ; 0x25c419d9
	.long	2028480056                      ; 0x78e82638
	.long	1258028235                      ; 0x4afbfccb
	.long	545095949                       ; 0x207d810d
	.long	3810471203                      ; 0xe31f2d23
	.long	1017064446                      ; 0x3c9f2bfe
	;; [unrolled: 1-line block ×3, first 2 shown]
	.long	441087832                       ; 0x1a4a7758
	.long	899068662                       ; 0x3596b2f6
	.long	3294064431                      ; 0xc4576f2f
	.long	167972517                       ; 0xa030ea5
	.long	3625210015                      ; 0xd814509f
	.long	1011845006                      ; 0x3c4f878e
	;; [unrolled: 1-line block ×10, first 2 shown]
	.long	113261909                       ; 0x6c03d55
	.long	3957193232                      ; 0xebddfa10
	.long	3953443155                      ; 0xeba4c153
	;; [unrolled: 1-line block ×6, first 2 shown]
	.long	329153573                       ; 0x139e7c25
	.long	1607201428                      ; 0x5fcbf294
	.long	425148945                       ; 0x19574211
	.long	1262591961                      ; 0x4b419fd9
	.long	2221781268                      ; 0x846db114
	.long	78028761                        ; 0x4a69fd9
	.long	2148245850                      ; 0x800ba15a
	.long	2787488981                      ; 0xa625b4d5
	;; [unrolled: 1-line block ×4, first 2 shown]
	.long	647235899                       ; 0x2694093b
	.long	3584435116                      ; 0xd5a623ac
	.long	3013084787                      ; 0xb3980673
	.long	287099941                       ; 0x111ccc25
	.long	1290407232                      ; 0x4cea0d40
	.long	1467385694                      ; 0x5776875e
	;; [unrolled: 1-line block ×8, first 2 shown]
	.long	343200643                       ; 0x1474d383
	.long	3189888821                      ; 0xbe21d735
	.long	4086304363                      ; 0xf3900e6b
	;; [unrolled: 1-line block ×3, first 2 shown]
	.long	259435633                       ; 0xf76ac71
	.long	2846377387                      ; 0xa9a845ab
	.long	497258846                       ; 0x1da3915e
	.long	272775541                       ; 0x10423975
	.long	1367093111                      ; 0x517c2f77
	.long	2957688879                      ; 0xb04ac02f
	;; [unrolled: 1-line block ×5, first 2 shown]
	.long	411877686                       ; 0x188cc136
	.long	3107480718                      ; 0xb938648e
	.long	2208729807                      ; 0x83a68acf
	.long	596436263                       ; 0x238ce527
	.long	3255120711                      ; 0xc2053347
	.long	584605030                       ; 0x22d85d66
	.long	519242965                       ; 0x1ef304d5
	;; [unrolled: 1-line block ×3, first 2 shown]
	.long	1619614                         ; 0x18b69e
	.long	1391563565                      ; 0x52f1932d
	.long	3902518209                      ; 0xe89bb3c1
	;; [unrolled: 1-line block ×4, first 2 shown]
	.long	728022295                       ; 0x2b64bd17
	.long	848624947                       ; 0x3294fd33
	.long	1932969318                      ; 0x7336c566
	.long	428214945                       ; 0x19860aa1
	.long	1246345586                      ; 0x4a49b972
	.long	4213351865                      ; 0xfb22a5b9
	.long	168985863                       ; 0xa128507
	.long	2770345237                      ; 0xa5201d15
	.long	4277869380                      ; 0xfefb1b44
	;; [unrolled: 1-line block ×13, first 2 shown]
	.long	831851874                       ; 0x31950d62
	.long	4285651092                      ; 0xff71d894
	.long	1214052447                      ; 0x485cf85f
	.long	1088456706                      ; 0x40e08802
	.long	231954609                       ; 0xdd358b1
	.long	3118005852                      ; 0xb9d8fe5c
	.long	225508069                       ; 0xd70fae5
	.long	1766983646                      ; 0x695207de
	;; [unrolled: 2-line block ×4, first 2 shown]
	.long	1782816591                      ; 0x6a439f4f
	.long	4024065226                      ; 0xefda5cca
	.long	1093546838                      ; 0x412e3356
	.long	4263608561                      ; 0xfe2180f1
	.long	1852072422                      ; 0x6e6461e6
	.long	1149716600                      ; 0x44874878
	.long	2441102396                      ; 0x9180443c
	.long	296426333                       ; 0x11ab1b5d
	.long	384641750                       ; 0x16ed2ad6
	.long	3559334435                      ; 0xd4272223
	.long	2391309970                      ; 0x8e887e92
	;; [unrolled: 1-line block ×4, first 2 shown]
	.long	24777793                        ; 0x17a1441
	.long	623926105                       ; 0x25305b59
	.long	362098678                       ; 0x15952ff6
	.long	1779396793                      ; 0x6a0f70b9
	.long	646997837                       ; 0x2690674d
	.long	1459728476                      ; 0x5701b05c
	.long	2644865980                      ; 0x9da573bc
	;; [unrolled: 1-line block ×4, first 2 shown]
	.long	919592580                       ; 0x36cfde84
	.long	2153558858                      ; 0x805cb34a
	.long	2029633394                      ; 0x78f9bf72
	.long	115778559                       ; 0x6e6a3ff
	.long	4016560170                      ; 0xef67d82a
	.long	484838096                       ; 0x1ce60ad0
	.long	3652199054                      ; 0xd9b0228e
	.long	1971790561                      ; 0x758722e1
	.long	737357475                       ; 0x2bf32ea3
	.long	637470291                       ; 0x25ff0653
	;; [unrolled: 1-line block ×3, first 2 shown]
	.long	3574824693                      ; 0xd5137ef5
	.long	295866521                       ; 0x11a29099
	.long	3989745853                      ; 0xedceb0bd
	.long	2542341803                      ; 0x97890eab
	;; [unrolled: 1-line block ×8, first 2 shown]
	.long	101448323                       ; 0x60bfa83
	.long	3233017580                      ; 0xc0b3eeec
	.long	4157527581                      ; 0xf7ced61d
	;; [unrolled: 1-line block ×3, first 2 shown]
	.long	186000900                       ; 0xb162604
	.long	803444571                       ; 0x2fe3975b
	.long	2820254958                      ; 0xa819acee
	.long	1980528062                      ; 0x760c75be
	;; [unrolled: 1-line block ×4, first 2 shown]
	.long	633608665                       ; 0x25c419d9
	.long	2028480056                      ; 0x78e82638
	.long	3166710281                      ; 0xbcc02a09
	.long	545095949                       ; 0x207d810d
	.long	3810471203                      ; 0xe31f2d23
	.long	1017064446                      ; 0x3c9f2bfe
	;; [unrolled: 1-line block ×3, first 2 shown]
	.long	693962828                       ; 0x295d084c
	.long	899068662                       ; 0x3596b2f6
	.long	3294064431                      ; 0xc4576f2f
	.long	167972517                       ; 0xa030ea5
	.long	3625210015                      ; 0xd814509f
	.long	1486040398                      ; 0x58932d4e
	;; [unrolled: 1-line block ×10, first 2 shown]
	.long	113261909                       ; 0x6c03d55
	.long	664880478                       ; 0x27a1455e
	.long	3953443155                      ; 0xeba4c153
	.long	2965828929                      ; 0xb0c6f541
	;; [unrolled: 1-line block ×4, first 2 shown]
	.long	558081801                       ; 0x2143a709
	.long	329153573                       ; 0x139e7c25
	.long	1607201428                      ; 0x5fcbf294
	.long	425148945                       ; 0x19574211
	.long	1262591961                      ; 0x4b419fd9
	.long	3716247699                      ; 0xdd817093
	.long	78028761                        ; 0x4a69fd9
	.long	2148245850                      ; 0x800ba15a
	.long	2787488981                      ; 0xa625b4d5
	;; [unrolled: 1-line block ×4, first 2 shown]
	.long	647235899                       ; 0x2694093b
	.long	3584435116                      ; 0xd5a623ac
	.long	3013084787                      ; 0xb3980673
	.long	287099941                       ; 0x111ccc25
	.long	2536781098                      ; 0x9734352a
	.long	1467385694                      ; 0x5776875e
	;; [unrolled: 1-line block ×8, first 2 shown]
	.long	343200643                       ; 0x1474d383
	.long	3189888821                      ; 0xbe21d735
	.long	2540485172                      ; 0x976cba34
	;; [unrolled: 1-line block ×3, first 2 shown]
	.long	259435633                       ; 0xf76ac71
	.long	2846377387                      ; 0xa9a845ab
	.long	497258846                       ; 0x1da3915e
	.long	2442427327                      ; 0x91947bbf
	.long	1367093111                      ; 0x517c2f77
	;; [unrolled: 1-line block ×6, first 2 shown]
	.long	411877686                       ; 0x188cc136
	.long	3107480718                      ; 0xb938648e
	.long	2208729807                      ; 0x83a68acf
	.long	596436263                       ; 0x238ce527
	.long	1048686529                      ; 0x3e81afc1
	.long	584605030                       ; 0x22d85d66
	.long	519242965                       ; 0x1ef304d5
	;; [unrolled: 1-line block ×3, first 2 shown]
	.long	1619614                         ; 0x18b69e
	.long	2072745381                      ; 0x7b8b95a5
	.long	3902518209                      ; 0xe89bb3c1
	;; [unrolled: 1-line block ×4, first 2 shown]
	.long	728022295                       ; 0x2b64bd17
	.long	846033949                       ; 0x326d741d
	.long	1932969318                      ; 0x7336c566
	.long	428214945                       ; 0x19860aa1
	.long	1246345586                      ; 0x4a49b972
	.long	4213351865                      ; 0xfb22a5b9
	;; [unrolled: 1-line block ×16, first 2 shown]
	.long	831851874                       ; 0x31950d62
	.long	522748140                       ; 0x1f2880ec
	.long	1214052447                      ; 0x485cf85f
	.long	1088456706                      ; 0x40e08802
	.long	231954609                       ; 0xdd358b1
	.long	3118005852                      ; 0xb9d8fe5c
	.long	1381269315                      ; 0x52547f43
	.long	1766983646                      ; 0x695207de
	.long	856371341                       ; 0x330b308d
	.long	2001356578                      ; 0x774a4722
	.long	639336670                       ; 0x261b80de
	.long	667275675                       ; 0x27c5d19b
	.long	1782816591                      ; 0x6a439f4f
	.long	4024065226                      ; 0xefda5cca
	;; [unrolled: 1-line block ×7, first 2 shown]
	.long	296426333                       ; 0x11ab1b5d
	.long	384641750                       ; 0x16ed2ad6
	;; [unrolled: 1-line block ×3, first 2 shown]
	.long	2391309970                      ; 0x8e887e92
	.long	1016016207                      ; 0x3c8f2d4f
	;; [unrolled: 1-line block ×3, first 2 shown]
	.long	24777793                        ; 0x17a1441
	.long	3094832341                      ; 0xb87764d5
	.long	362098678                       ; 0x15952ff6
	.long	1779396793                      ; 0x6a0f70b9
	.long	646997837                       ; 0x2690674d
	.long	1459728476                      ; 0x5701b05c
	.long	1169681568                      ; 0x45b7eca0
	;; [unrolled: 1-line block ×4, first 2 shown]
	.long	919592580                       ; 0x36cfde84
	.long	2153558858                      ; 0x805cb34a
	.long	388335108                       ; 0x17258604
	.long	115778559                       ; 0x6e6a3ff
	.long	4016560170                      ; 0xef67d82a
	.long	484838096                       ; 0x1ce60ad0
	.long	3652199054                      ; 0xd9b0228e
	.long	1764858181                      ; 0x69319945
	.long	737357475                       ; 0x2bf32ea3
	.long	637470291                       ; 0x25ff0653
	;; [unrolled: 1-line block ×3, first 2 shown]
	.long	3574824693                      ; 0xd5137ef5
	.long	3671458900                      ; 0xdad60454
	;; [unrolled: 1-line block ×10, first 2 shown]
	.long	101448323                       ; 0x60bfa83
	.long	3964942332                      ; 0xec5437fc
	.long	4157527581                      ; 0xf7ced61d
	;; [unrolled: 1-line block ×3, first 2 shown]
	.long	186000900                       ; 0xb162604
	.long	803444571                       ; 0x2fe3975b
	.long	3425652083                      ; 0xcc2f4d73
	.long	1980528062                      ; 0x760c75be
	;; [unrolled: 1-line block ×4, first 2 shown]
	.long	633608665                       ; 0x25c419d9
	.long	3035373876                      ; 0xb4ec2134
	.long	3166710281                      ; 0xbcc02a09
	.long	545095949                       ; 0x207d810d
	.long	3810471203                      ; 0xe31f2d23
	.long	1017064446                      ; 0x3c9f2bfe
	.long	669282349                       ; 0x27e4702d
	.long	693962828                       ; 0x295d084c
	;; [unrolled: 1-line block ×3, first 2 shown]
	.long	3294064431                      ; 0xc4576f2f
	.long	167972517                       ; 0xa030ea5
	.long	2007256988                      ; 0x77a44f9c
	.long	1486040398                      ; 0x58932d4e
	;; [unrolled: 1-line block ×11, first 2 shown]
	.long	664880478                       ; 0x27a1455e
	.long	3953443155                      ; 0xeba4c153
	.long	2965828929                      ; 0xb0c6f541
	;; [unrolled: 1-line block ×4, first 2 shown]
	.long	558081801                       ; 0x2143a709
	.long	329153573                       ; 0x139e7c25
	.long	1607201428                      ; 0x5fcbf294
	.long	425148945                       ; 0x19574211
	.long	1700881129                      ; 0x656162e9
	.long	3716247699                      ; 0xdd817093
	.long	78028761                        ; 0x4a69fd9
	.long	2148245850                      ; 0x800ba15a
	.long	2787488981                      ; 0xa625b4d5
	;; [unrolled: 1-line block ×4, first 2 shown]
	.long	647235899                       ; 0x2694093b
	.long	3584435116                      ; 0xd5a623ac
	.long	3013084787                      ; 0xb3980673
	;; [unrolled: 1-line block ×11, first 2 shown]
	.long	343200643                       ; 0x1474d383
	.long	490164649                       ; 0x1d3751a9
	.long	2540485172                      ; 0x976cba34
	.long	3521512280                      ; 0xd1e60358
	.long	259435633                       ; 0xf76ac71
	.long	2846377387                      ; 0xa9a845ab
	.long	4073611831                      ; 0xf2ce6237
	;; [unrolled: 1-line block ×8, first 2 shown]
	.long	411877686                       ; 0x188cc136
	.long	3107480718                      ; 0xb938648e
	.long	2208729807                      ; 0x83a68acf
	;; [unrolled: 1-line block ×4, first 2 shown]
	.long	584605030                       ; 0x22d85d66
	.long	519242965                       ; 0x1ef304d5
	;; [unrolled: 1-line block ×3, first 2 shown]
	.long	2978864605                      ; 0xb18ddddd
	.long	2072745381                      ; 0x7b8b95a5
	;; [unrolled: 1-line block ×6, first 2 shown]
	.long	846033949                       ; 0x326d741d
	.long	1932969318                      ; 0x7336c566
	.long	428214945                       ; 0x19860aa1
	.long	1246345586                      ; 0x4a49b972
	;; [unrolled: 2-line block ×3, first 2 shown]
	.long	2770345237                      ; 0xa5201d15
	.long	4277869380                      ; 0xfefb1b44
	.long	3886828599                      ; 0xe7ac4c37
	.long	1874087886                      ; 0x6fb44fce
	.long	1877859690                      ; 0x6feddd6a
	.long	2953581033                      ; 0xb00c11e9
	.long	2649164828                      ; 0x9de70c1c
	.long	3369378320                      ; 0xc8d4a210
	.long	4145454028                      ; 0xf7169bcc
	.long	2537763389                      ; 0x9743323d
	.long	2380353977                      ; 0x8de151b9
	.long	3558859222                      ; 0xd41fe1d6
	.long	2669673235                      ; 0x9f1ffb13
	.long	739345884                       ; 0x2c1185dc
	.long	522748140                       ; 0x1f2880ec
	.long	1214052447                      ; 0x485cf85f
	.long	1088456706                      ; 0x40e08802
	.long	231954609                       ; 0xdd358b1
	.long	3605603781                      ; 0xd6e925c5
	.long	1381269315                      ; 0x52547f43
	;; [unrolled: 1-line block ×3, first 2 shown]
	.long	856371341                       ; 0x330b308d
	.long	2001356578                      ; 0x774a4722
	.long	2049940324                      ; 0x7a2f9b64
	.long	667275675                       ; 0x27c5d19b
	.long	1782816591                      ; 0x6a439f4f
	.long	4024065226                      ; 0xefda5cca
	.long	1093546838                      ; 0x412e3356
	.long	152524382                       ; 0x917565e
	.long	2057337961                      ; 0x7aa07c69
	;; [unrolled: 4-line block ×3, first 2 shown]
	.long	340523210                       ; 0x144bf8ca
	.long	2391309970                      ; 0x8e887e92
	.long	1016016207                      ; 0x3c8f2d4f
	;; [unrolled: 1-line block ×3, first 2 shown]
	.long	180492441                       ; 0xac21899
	.long	3094832341                      ; 0xb87764d5
	.long	362098678                       ; 0x15952ff6
	.long	1779396793                      ; 0x6a0f70b9
	;; [unrolled: 2-line block ×3, first 2 shown]
	.long	1169681568                      ; 0x45b7eca0
	.long	3238673748                      ; 0xc10a3d54
	.long	3956278544                      ; 0xebd00510
	.long	919592580                       ; 0x36cfde84
	.long	3421005218                      ; 0xcbe865a2
	.long	388335108                       ; 0x17258604
	.long	115778559                       ; 0x6e6a3ff
	.long	4016560170                      ; 0xef67d82a
	.long	484838096                       ; 0x1ce60ad0
	.long	2649676374                      ; 0x9deeda56
	.long	1764858181                      ; 0x69319945
	.long	737357475                       ; 0x2bf32ea3
	.long	637470291                       ; 0x25ff0653
	.long	278970544                       ; 0x10a0c0b0
	.long	2236401278                      ; 0x854cc67e
	.long	3671458900                      ; 0xdad60454
	;; [unrolled: 1-line block ×14, first 2 shown]
	.long	186000900                       ; 0xb162604
	.long	2189716659                      ; 0x82846cb3
	.long	3425652083                      ; 0xcc2f4d73
	;; [unrolled: 1-line block ×16, first 2 shown]
	.long	396530346                       ; 0x17a292aa
	.long	3276617756                      ; 0xc34d381c
	.long	3293940597                      ; 0xc4558b75
	.long	4050183149                      ; 0xf168e3ed
	.long	1418571985                      ; 0x548db0d1
	.long	402563753                       ; 0x17fea2a9
	.long	2702853013                      ; 0xa11a4395
	.long	2289900621                      ; 0x887d1c4d
	;; [unrolled: 1-line block ×9, first 2 shown]
	.long	434730475                       ; 0x19e975eb
	.long	3210959778                      ; 0xbf635ba2
	.long	4102029739                      ; 0xf48001ab
	.long	2140938750                      ; 0x7f9c21fe
	.long	3176753074                      ; 0xbd5967b2
	.long	2356971512                      ; 0x8c7c87f8
	.long	3969685288                      ; 0xec9c9728
	.long	1556275580                      ; 0x5cc2e17c
	.long	2648433428                      ; 0x9ddbe314
	.long	3959375381                      ; 0xebff4615
	.long	478841344                       ; 0x1c8a8a00
	.long	1496991528                      ; 0x593a4728
	.long	3309714981                      ; 0xc5463e25
	.long	569990368                       ; 0x21f95ce0
	.long	3660587501                      ; 0xda3021ed
	.long	2550379574                      ; 0x9803b436
	;; [unrolled: 1-line block ×4, first 2 shown]
	.long	543943404                       ; 0x206beaec
	.long	1912551128                      ; 0x71ff36d8
	.long	2278132032                      ; 0x87c98940
	;; [unrolled: 1-line block ×13, first 2 shown]
	.long	823738729                       ; 0x31194169
	.long	3742134467                      ; 0xdf0c70c3
	.long	4066657438                      ; 0xf264449e
	;; [unrolled: 1-line block ×4, first 2 shown]
	.long	537573634                       ; 0x200ab902
	.long	3457409768                      ; 0xce13e2e8
	.long	1940233423                      ; 0x73a59ccf
	;; [unrolled: 1-line block ×8, first 2 shown]
	.long	604785127                       ; 0x240c49e7
	.long	2213464116                      ; 0x83eec834
	.long	3002782918                      ; 0xb2fad4c6
	.long	468024929                       ; 0x1be57e61
	.long	2490681314                      ; 0x9474c7e2
	.long	3666681384                      ; 0xda8d1e28
	;; [unrolled: 1-line block ×8, first 2 shown]
	.long	832526980                       ; 0x319f5a84
	.long	3728763274                      ; 0xde40698a
	.long	355291229                       ; 0x152d505d
	.long	4029588456                      ; 0xf02ea3e8
	;; [unrolled: 2-line block ×3, first 2 shown]
	.long	3681181038                      ; 0xdb6a5d6e
	.long	3245535160                      ; 0xc172efb8
	;; [unrolled: 1-line block ×4, first 2 shown]
	.long	446790068                       ; 0x1aa179b4
	.long	1278093154                      ; 0x4c2e2762
	.long	2090118615                      ; 0x7c94add7
	;; [unrolled: 1-line block ×4, first 2 shown]
	.long	822726809                       ; 0x3109d099
	.long	1154960183                      ; 0x44d74b37
	.long	286518382                       ; 0x1113ec6e
	.long	1170424276                      ; 0x45c341d4
	.long	2554691236                      ; 0x98457ea4
	;; [unrolled: 1-line block ×7, first 2 shown]
	.long	410252600                       ; 0x1873f538
	.long	3977128218                      ; 0xed0e291a
	.long	424210327                       ; 0x1948ef97
	.long	2919071615                      ; 0xadfd7f7f
	.long	2715518134                      ; 0xa1db84b6
	.long	64568844                        ; 0x3d93e0c
	.long	480972649                       ; 0x1cab0f69
	.long	2488797168                      ; 0x945807f0
	.long	1302817038                      ; 0x4da7690e
	;; [unrolled: 1-line block ×5, first 2 shown]
	.long	109368057                       ; 0x684d2f9
	.long	3033807022                      ; 0xb4d438ae
	.long	1907400078                      ; 0x71b09d8e
	.long	645977948                       ; 0x2680d75c
	.long	1410909090                      ; 0x5418c3a2
	.long	3700787906                      ; 0xdc958ac2
	;; [unrolled: 1-line block ×3, first 2 shown]
	.long	629087832                       ; 0x257f1e58
	.long	1344281719                      ; 0x50201c77
	.long	4249981139                      ; 0xfd5190d3
	;; [unrolled: 1-line block ×4, first 2 shown]
	.long	864222854                       ; 0x3382fe86
	.long	1458445945                      ; 0x56ee1e79
	.long	914545469                       ; 0x3682db3d
	.long	3451164212                      ; 0xcdb49634
	.long	1088025757                      ; 0x40d9f49d
	.long	1129933985                      ; 0x43596ca1
	.long	953788883                       ; 0x38d9a9d3
	.long	2406172924                      ; 0x8f6b48fc
	.long	170364546                       ; 0xa278e82
	.long	3505490646                      ; 0xd0f18ad6
	.long	1027553899                      ; 0x3d3f3a6b
	.long	2864067776                      ; 0xaab634c0
	;; [unrolled: 6-line block ×3, first 2 shown]
	.long	2442254644                      ; 0x9191d934
	.long	2110123720                      ; 0x7dc5eec8
	;; [unrolled: 1-line block ×3, first 2 shown]
	.long	873066601                       ; 0x3409f069
	.long	1725470559                      ; 0x66d8975f
	.long	3831299052                      ; 0xe45cfbec
	.long	678672031                       ; 0x2873b69f
	.long	1585431329                      ; 0x5e7fc321
	.long	3495750550                      ; 0xd05ceb96
	;; [unrolled: 1-line block ×16, first 2 shown]
	.long	227040990                       ; 0xd885ede
	.long	1724350416                      ; 0x66c77fd0
	.long	3228881240                      ; 0xc074d158
	;; [unrolled: 1-line block ×7, first 2 shown]
	.long	206207480                       ; 0xc4a79f8
	.long	1894245533                      ; 0x70e7e49d
	.long	2152374527                      ; 0x804aa0ff
	;; [unrolled: 1-line block ×3, first 2 shown]
	.long	7271757                         ; 0x6ef54d
	.long	2972858087                      ; 0xb13236e7
	.long	207942127                       ; 0xc64f1ef
	.long	3355362797                      ; 0xc7fec5ed
	.long	2593296740                      ; 0x9a929164
	.long	174093751                       ; 0xa6075b7
	.long	3713822176                      ; 0xdd5c6de0
	.long	4212355586                      ; 0xfb137202
	.long	3335605224                      ; 0xc6d14be8
	.long	1171716408                      ; 0x45d6f938
	.long	2867257989                      ; 0xaae6e285
	.long	1522213957                      ; 0x5abb2445
	.long	2016192462                      ; 0x782ca7ce
	.long	4229688395                      ; 0xfc1bec4b
	.long	2174928148                      ; 0x81a2c514
	.long	1468226225                      ; 0x57835ab1
	.long	3938290338                      ; 0xeabd8aa2
	.long	493240317                       ; 0x1d663ffd
	.long	3229423344                      ; 0xc07d16f0
	.long	2585475729                      ; 0x9a1b3a91
	;; [unrolled: 1-line block ×6, first 2 shown]
	.long	380428329                       ; 0x16ace029
	.long	3341885423                      ; 0xc7311fef
	.long	3307510279                      ; 0xc5249a07
	;; [unrolled: 1-line block ×5, first 2 shown]
	.long	109341943                       ; 0x6846cf7
	.long	2382715395                      ; 0x8e055a03
	.long	3883409616                      ; 0xe77820d0
	;; [unrolled: 1-line block ×7, first 2 shown]
	.long	561144874                       ; 0x2172642a
	.long	316017838                       ; 0x12d60cae
	.long	1899237567                      ; 0x713410bf
	.long	70857401                        ; 0x43932b9
	.long	3435185465                      ; 0xccc0c539
	.long	4234661323                      ; 0xfc67cdcb
	;; [unrolled: 1-line block ×3, first 2 shown]
	.long	32879620                        ; 0x1f5b404
	.long	4171670150                      ; 0xf8a6a286
	.long	1986234067                      ; 0x766386d3
	;; [unrolled: 1-line block ×5, first 2 shown]
	.long	377997975                       ; 0x1687ca97
	.long	2474419397                      ; 0x937ca4c5
	.long	3110698341                      ; 0xb9697d65
	.long	812664089                       ; 0x30704519
	.long	1778922726                      ; 0x6a0834e6
	.long	1686111212                      ; 0x648003ec
	;; [unrolled: 3-line block ×3, first 2 shown]
	.long	423435866                       ; 0x193d1e5a
	.long	1661961159                      ; 0x630f83c7
	.long	802312780                       ; 0x2fd2524c
	.long	1868728136                      ; 0x6f628748
	.long	1760295704                      ; 0x68ebfb18
	;; [unrolled: 1-line block ×3, first 2 shown]
	.long	215039860                       ; 0xcd13f74
	.long	683184627                       ; 0x28b891f3
	.long	4019111064                      ; 0xef8ec498
	.long	3609261689                      ; 0xd720f679
	;; [unrolled: 1-line block ×6, first 2 shown]
	.long	628277197                       ; 0x2572bfcd
	.long	2900207619                      ; 0xacdda803
	.long	993609502                       ; 0x3b39471e
	.long	3429627083                      ; 0xcc6bf4cb
	.long	2636466084                      ; 0x9d2547a4
	;; [unrolled: 1-line block ×7, first 2 shown]
	.long	783029246                       ; 0x2eac13fe
	.long	2165667566                      ; 0x811576ee
	.long	1739001057                      ; 0x67a70ce1
	.long	377639972                       ; 0x16825424
	.long	1102689625                      ; 0x41b9b559
	.long	1945278055                      ; 0x73f29667
	;; [unrolled: 1-line block ×6, first 2 shown]
	.long	801752                          ; 0xc3bd8
	.long	2729497735                      ; 0xa2b0d487
	.long	492844690                       ; 0x1d603692
	.long	2998826141                      ; 0xb2be749d
	.long	3844964457                      ; 0xe52d8069
	;; [unrolled: 1-line block ×5, first 2 shown]
	.long	357321611                       ; 0x154c4b8b
	.long	3727170055                      ; 0xde281a07
	.long	1819614072                      ; 0x6c751b78
	;; [unrolled: 1-line block ×7, first 2 shown]
	.long	232392443                       ; 0xdda06fb
	.long	4183498179                      ; 0xf95b1dc3
	.long	2614866055                      ; 0x9bdbb087
	.long	112120292                       ; 0x6aed1e4
	.long	3624018350                      ; 0xd80221ae
	.long	3340709877                      ; 0xc71f2ff5
	;; [unrolled: 1-line block ×6, first 2 shown]
	.long	293812421                       ; 0x118338c5
	.long	3683058169                      ; 0xdb8701f9
	.long	1147960351                      ; 0x446c7c1f
	.long	283731890                       ; 0x10e967b2
	.long	2171233479                      ; 0x816a64c7
	.long	1830154455                      ; 0x6d15f0d7
	;; [unrolled: 1-line block ×4, first 2 shown]
	.long	132803834                       ; 0x7ea6cfa
	.long	40256165                        ; 0x26642a5
	.long	2158110401                      ; 0x80a226c1
	.long	3575159090                      ; 0xd5189932
	;; [unrolled: 1-line block ×27, first 2 shown]
	.long	206207480                       ; 0xc4a79f8
	.long	1894245533                      ; 0x70e7e49d
	.long	96723416                        ; 0x5c3e1d8
	.long	1011223653                      ; 0x3c460c65
	.long	7271757                         ; 0x6ef54d
	.long	2972858087                      ; 0xb13236e7
	.long	207942127                       ; 0xc64f1ef
	.long	1668335352                      ; 0x6370c6f8
	.long	2593296740                      ; 0x9a929164
	.long	174093751                       ; 0xa6075b7
	.long	3713822176                      ; 0xdd5c6de0
	.long	4212355586                      ; 0xfb137202
	.long	49226793                        ; 0x2ef2429
	.long	1171716408                      ; 0x45d6f938
	.long	2867257989                      ; 0xaae6e285
	;; [unrolled: 1-line block ×4, first 2 shown]
	.long	118712412                       ; 0x713685c
	.long	2174928148                      ; 0x81a2c514
	.long	1468226225                      ; 0x57835ab1
	;; [unrolled: 1-line block ×3, first 2 shown]
	.long	493240317                       ; 0x1d663ffd
	.long	3788174304                      ; 0xe1caf3e0
	.long	2585475729                      ; 0x9a1b3a91
	;; [unrolled: 1-line block ×6, first 2 shown]
	.long	380428329                       ; 0x16ace029
	.long	3341885423                      ; 0xc7311fef
	.long	3307510279                      ; 0xc5249a07
	;; [unrolled: 1-line block ×5, first 2 shown]
	.long	109341943                       ; 0x6846cf7
	.long	2382715395                      ; 0x8e055a03
	.long	3883409616                      ; 0xe77820d0
	;; [unrolled: 1-line block ×8, first 2 shown]
	.long	316017838                       ; 0x12d60cae
	.long	1899237567                      ; 0x713410bf
	.long	70857401                        ; 0x43932b9
	.long	3435185465                      ; 0xccc0c539
	.long	2585770746                      ; 0x9a1fbafa
	;; [unrolled: 1-line block ×3, first 2 shown]
	.long	32879620                        ; 0x1f5b404
	.long	4171670150                      ; 0xf8a6a286
	.long	1986234067                      ; 0x766386d3
	;; [unrolled: 1-line block ×5, first 2 shown]
	.long	377997975                       ; 0x1687ca97
	.long	2474419397                      ; 0x937ca4c5
	.long	908728599                       ; 0x362a1917
	.long	812664089                       ; 0x30704519
	.long	1778922726                      ; 0x6a0834e6
	.long	1686111212                      ; 0x648003ec
	.long	972784138                       ; 0x39fb820a
	.long	1992540005                      ; 0x76c3bf65
	.long	2711468739                      ; 0xa19dbac3
	.long	423435866                       ; 0x193d1e5a
	.long	1661961159                      ; 0x630f83c7
	.long	802312780                       ; 0x2fd2524c
	.long	907108769                       ; 0x361161a1
	.long	1760295704                      ; 0x68ebfb18
	.long	3357409828                      ; 0xc81e0224
	.long	215039860                       ; 0xcd13f74
	.long	683184627                       ; 0x28b891f3
	.long	2806826652                      ; 0xa74cc69c
	.long	3609261689                      ; 0xd720f679
	;; [unrolled: 1-line block ×6, first 2 shown]
	.long	628277197                       ; 0x2572bfcd
	.long	2900207619                      ; 0xacdda803
	.long	993609502                       ; 0x3b39471e
	.long	3429627083                      ; 0xcc6bf4cb
	.long	3605915742                      ; 0xd6ede85e
	;; [unrolled: 1-line block ×7, first 2 shown]
	.long	783029246                       ; 0x2eac13fe
	.long	2165667566                      ; 0x811576ee
	.long	1739001057                      ; 0x67a70ce1
	.long	377639972                       ; 0x16825424
	.long	2355216626                      ; 0x8c61c0f2
	.long	1945278055                      ; 0x73f29667
	;; [unrolled: 1-line block ×6, first 2 shown]
	.long	801752                          ; 0xc3bd8
	.long	2729497735                      ; 0xa2b0d487
	.long	492844690                       ; 0x1d603692
	.long	2998826141                      ; 0xb2be749d
	.long	2719601647                      ; 0xa219d3ef
	.long	3679088359                      ; 0xdb4a6ee7
	.long	2196391660                      ; 0x82ea46ec
	.long	4222269404                      ; 0xfbaab7dc
	.long	357321611                       ; 0x154c4b8b
	.long	1319821972                      ; 0x4eaae294
	.long	1819614072                      ; 0x6c751b78
	;; [unrolled: 1-line block ×7, first 2 shown]
	.long	232392443                       ; 0xdda06fb
	.long	4183498179                      ; 0xf95b1dc3
	.long	2614866055                      ; 0x9bdbb087
	.long	440744432                       ; 0x1a4539f0
	.long	3624018350                      ; 0xd80221ae
	.long	3340709877                      ; 0xc71f2ff5
	;; [unrolled: 1-line block ×4, first 2 shown]
	.long	224895395                       ; 0xd67a1a3
	.long	3338260086                      ; 0xc6f9ce76
	.long	293812421                       ; 0x118338c5
	.long	3683058169                      ; 0xdb8701f9
	.long	1147960351                      ; 0x446c7c1f
	;; [unrolled: 1-line block ×8, first 2 shown]
	.long	40256165                        ; 0x26642a5
	.long	2158110401                      ; 0x80a226c1
	.long	3575159090                      ; 0xd5189932
	;; [unrolled: 1-line block ×13, first 2 shown]
	.long	441678457                       ; 0x1a537a79
	.long	3715729085                      ; 0xdd7986bd
	.long	3451270040                      ; 0xcdb63398
	;; [unrolled: 1-line block ×13, first 2 shown]
	.long	206207480                       ; 0xc4a79f8
	.long	2065093599                      ; 0x7b16d3df
	.long	96723416                        ; 0x5c3e1d8
	.long	1011223653                      ; 0x3c460c65
	.long	7271757                         ; 0x6ef54d
	.long	2972858087                      ; 0xb13236e7
	.long	1094044749                      ; 0x4135cc4d
	;; [unrolled: 1-line block ×4, first 2 shown]
	.long	174093751                       ; 0xa6075b7
	.long	3713822176                      ; 0xdd5c6de0
	.long	2887397643                      ; 0xac1a310b
	.long	49226793                        ; 0x2ef2429
	.long	1171716408                      ; 0x45d6f938
	.long	2867257989                      ; 0xaae6e285
	;; [unrolled: 1-line block ×3, first 2 shown]
	.long	984348433                       ; 0x3aabf711
	.long	118712412                       ; 0x713685c
	.long	2174928148                      ; 0x81a2c514
	.long	1468226225                      ; 0x57835ab1
	;; [unrolled: 1-line block ×10, first 2 shown]
	.long	380428329                       ; 0x16ace029
	.long	3341885423                      ; 0xc7311fef
	.long	3307510279                      ; 0xc5249a07
	;; [unrolled: 1-line block ×5, first 2 shown]
	.long	109341943                       ; 0x6846cf7
	.long	2382715395                      ; 0x8e055a03
	.long	2836761616                      ; 0xa9158c10
	;; [unrolled: 1-line block ×8, first 2 shown]
	.long	316017838                       ; 0x12d60cae
	.long	1899237567                      ; 0x713410bf
	.long	70857401                        ; 0x43932b9
	.long	3481535811                      ; 0xcf840543
	.long	2585770746                      ; 0x9a1fbafa
	.long	2580352177                      ; 0x99cd0cb1
	.long	32879620                        ; 0x1f5b404
	.long	4171670150                      ; 0xf8a6a286
	.long	2248003250                      ; 0x85fdceb2
	;; [unrolled: 1-line block ×5, first 2 shown]
	.long	377997975                       ; 0x1687ca97
	.long	3286162818                      ; 0xc3dedd82
	.long	908728599                       ; 0x362a1917
	.long	812664089                       ; 0x30704519
	.long	1778922726                      ; 0x6a0834e6
	.long	1686111212                      ; 0x648003ec
	;; [unrolled: 1-line block ×5, first 2 shown]
	.long	423435866                       ; 0x193d1e5a
	.long	1661961159                      ; 0x630f83c7
	.long	2257259057                      ; 0x868b0a31
	.long	907108769                       ; 0x361161a1
	.long	1760295704                      ; 0x68ebfb18
	.long	3357409828                      ; 0xc81e0224
	;; [unrolled: 3-line block ×3, first 2 shown]
	.long	3609261689                      ; 0xd720f679
	.long	2167554309                      ; 0x81324105
	;; [unrolled: 1-line block ×5, first 2 shown]
	.long	628277197                       ; 0x2572bfcd
	.long	2900207619                      ; 0xacdda803
	.long	993609502                       ; 0x3b39471e
	.long	2036092353                      ; 0x795c4dc1
	.long	3605915742                      ; 0xd6ede85e
	;; [unrolled: 1-line block ×5, first 2 shown]
	.long	118446953                       ; 0x70f5b69
	.long	3717326627                      ; 0xdd91e723
	.long	783029246                       ; 0x2eac13fe
	.long	2165667566                      ; 0x811576ee
	.long	1739001057                      ; 0x67a70ce1
	.long	203160626                       ; 0xc1bfc32
	.long	2355216626                      ; 0x8c61c0f2
	.long	1945278055                      ; 0x73f29667
	;; [unrolled: 1-line block ×4, first 2 shown]
	.long	546361979                       ; 0x2090d27b
	.long	4024097818                      ; 0xefdadc1a
	.long	801752                          ; 0xc3bd8
	.long	2729497735                      ; 0xa2b0d487
	.long	492844690                       ; 0x1d603692
	.long	1023017124                      ; 0x3cfa00a4
	.long	2719601647                      ; 0xa219d3ef
	;; [unrolled: 1-line block ×5, first 2 shown]
	.long	621859651                       ; 0x2510d343
	.long	1319821972                      ; 0x4eaae294
	.long	1819614072                      ; 0x6c751b78
	;; [unrolled: 1-line block ×7, first 2 shown]
	.long	232392443                       ; 0xdda06fb
	.long	4183498179                      ; 0xf95b1dc3
	.long	3959504609                      ; 0xec013ee1
	.long	440744432                       ; 0x1a4539f0
	.long	3624018350                      ; 0xd80221ae
	.long	3340709877                      ; 0xc71f2ff5
	;; [unrolled: 1-line block ×4, first 2 shown]
	.long	224895395                       ; 0xd67a1a3
	.long	3338260086                      ; 0xc6f9ce76
	.long	293812421                       ; 0x118338c5
	.long	3683058169                      ; 0xdb8701f9
	.long	1655305863                      ; 0x62a9f687
	;; [unrolled: 1-line block ×8, first 2 shown]
	.long	40256165                        ; 0x26642a5
	.long	2158110401                      ; 0x80a226c1
	.long	3575159090                      ; 0xd5189932
	;; [unrolled: 1-line block ×13, first 2 shown]
	.long	441678457                       ; 0x1a537a79
	.long	3715729085                      ; 0xdd7986bd
	.long	3451270040                      ; 0xcdb63398
	;; [unrolled: 1-line block ×15, first 2 shown]
	.long	96723416                        ; 0x5c3e1d8
	.long	1011223653                      ; 0x3c460c65
	.long	7271757                         ; 0x6ef54d
	.long	649658033                       ; 0x26b8feb1
	.long	1094044749                      ; 0x4135cc4d
	.long	1668335352                      ; 0x6370c6f8
	;; [unrolled: 1-line block ×3, first 2 shown]
	.long	174093751                       ; 0xa6075b7
	.long	4159420309                      ; 0xf7ebb795
	.long	2887397643                      ; 0xac1a310b
	.long	49226793                        ; 0x2ef2429
	.long	1171716408                      ; 0x45d6f938
	.long	2867257989                      ; 0xaae6e285
	;; [unrolled: 1-line block ×3, first 2 shown]
	.long	984348433                       ; 0x3aabf711
	.long	118712412                       ; 0x713685c
	.long	2174928148                      ; 0x81a2c514
	.long	1468226225                      ; 0x57835ab1
	;; [unrolled: 1-line block ×10, first 2 shown]
	.long	380428329                       ; 0x16ace029
	.long	3341885423                      ; 0xc7311fef
	.long	1285273904                      ; 0x4c9bb930
	;; [unrolled: 1-line block ×5, first 2 shown]
	.long	109341943                       ; 0x6846cf7
	.long	2318470582                      ; 0x8a310db6
	.long	2836761616                      ; 0xa9158c10
	;; [unrolled: 1-line block ×5, first 2 shown]
	.long	674658583                       ; 0x28367917
	.long	1635278016                      ; 0x61785cc0
	.long	2313252274                      ; 0x89e16db2
	.long	316017838                       ; 0x12d60cae
	.long	1899237567                      ; 0x713410bf
	.long	2192372173                      ; 0x82acf1cd
	;; [unrolled: 1-line block ×5, first 2 shown]
	.long	32879620                        ; 0x1f5b404
	.long	300323274                       ; 0x11e691ca
	.long	2248003250                      ; 0x85fdceb2
	.long	3317983509                      ; 0xc5c46915
	;; [unrolled: 1-line block ×6, first 2 shown]
	.long	908728599                       ; 0x362a1917
	.long	812664089                       ; 0x30704519
	.long	1778922726                      ; 0x6a0834e6
	.long	2263290659                      ; 0x86e71323
	;; [unrolled: 1-line block ×5, first 2 shown]
	.long	423435866                       ; 0x193d1e5a
	.long	819027349                       ; 0x30d15d95
	.long	2257259057                      ; 0x868b0a31
	.long	907108769                       ; 0x361161a1
	.long	1760295704                      ; 0x68ebfb18
	.long	3357409828                      ; 0xc81e0224
	;; [unrolled: 1-line block ×10, first 2 shown]
	.long	628277197                       ; 0x2572bfcd
	.long	2900207619                      ; 0xacdda803
	.long	3041719497                      ; 0xb54cf4c9
	;; [unrolled: 1-line block ×7, first 2 shown]
	.long	118446953                       ; 0x70f5b69
	.long	3717326627                      ; 0xdd91e723
	.long	783029246                       ; 0x2eac13fe
	.long	2165667566                      ; 0x811576ee
	.long	2721690354                      ; 0xa239b2f2
	.long	203160626                       ; 0xc1bfc32
	.long	2355216626                      ; 0x8c61c0f2
	.long	1945278055                      ; 0x73f29667
	;; [unrolled: 1-line block ×4, first 2 shown]
	.long	546361979                       ; 0x2090d27b
	.long	4024097818                      ; 0xefdadc1a
	.long	801752                          ; 0xc3bd8
	.long	2729497735                      ; 0xa2b0d487
	.long	4045063232                      ; 0xf11ac440
	;; [unrolled: 1-line block ×7, first 2 shown]
	.long	621859651                       ; 0x2510d343
	.long	1319821972                      ; 0x4eaae294
	.long	1819614072                      ; 0x6c751b78
	;; [unrolled: 1-line block ×7, first 2 shown]
	.long	232392443                       ; 0xdda06fb
	.long	3359040541                      ; 0xc836e41d
	.long	3959504609                      ; 0xec013ee1
	.long	440744432                       ; 0x1a4539f0
	.long	3624018350                      ; 0xd80221ae
	.long	3340709877                      ; 0xc71f2ff5
	;; [unrolled: 1-line block ×4, first 2 shown]
	.long	224895395                       ; 0xd67a1a3
	.long	3338260086                      ; 0xc6f9ce76
	.long	293812421                       ; 0x118338c5
	.long	4210187101                      ; 0xfaf25b5d
	.long	1655305863                      ; 0x62a9f687
	.long	3433425235                      ; 0xcca5e953
	.long	2171233479                      ; 0x816a64c7
	.long	1830154455                      ; 0x6d15f0d7
	.long	4150241150                      ; 0xf75fa77e
	.long	3731384097                      ; 0xde686721
	.long	2875889721                      ; 0xab6a9839
	.long	40256165                        ; 0x26642a5
	.long	2158110401                      ; 0x80a226c1
	.long	3350246687                      ; 0xc7b0b51f
	.long	455561037                       ; 0x1b274f4d
	.long	2250400255                      ; 0x862261ff
	.long	3192153445                      ; 0xbe446565
	;; [unrolled: 1-line block ×8, first 2 shown]
	.long	323745948                       ; 0x134bf89c
	.long	1976017426                      ; 0x75c7a212
	.long	2804626790                      ; 0xa72b3566
	;; [unrolled: 1-line block ×4, first 2 shown]
	.long	954508235                       ; 0x38e4a3cb
	.long	3845175920                      ; 0xe530ba70
	.long	3999878682                      ; 0xee694e1a
	;; [unrolled: 1-line block ×7, first 2 shown]
	.long	191306987                       ; 0xb671ceb
	.long	2816321878                      ; 0xa7dda956
	.long	1324077734                      ; 0x4eebd2a6
	.long	1083060006                      ; 0x408e2f26
	.long	3406855480                      ; 0xcb107d38
	.long	1619622379                      ; 0x608979eb
	.long	2160350                         ; 0x20f6de
	.long	3302238190                      ; 0xc4d427ee
	.long	3368021261                      ; 0xc8bfed0d
	;; [unrolled: 1-line block ×4, first 2 shown]
	.long	771728612                       ; 0x2dffa4e4
	.long	854205233                       ; 0x32ea2331
	.long	2304696695                      ; 0x895ee177
	.long	421449207                       ; 0x191ecdf7
	.long	1265752117                      ; 0x4b71d835
	.long	3852292419                      ; 0xe59d5143
	.long	305345788                       ; 0x123334fc
	.long	1540622105                      ; 0x5bd40719
	.long	1904883477                      ; 0x718a3715
	.long	833469256                       ; 0x31adbb48
	.long	134406680                       ; 0x802e218
	.long	3012455058                      ; 0xb38e6a92
	.long	4035477953                      ; 0xf08881c1
	;; [unrolled: 1-line block ×5, first 2 shown]
	.long	718484562                       ; 0x2ad33452
	.long	1377960276                      ; 0x52220154
	.long	1586892849                      ; 0x5e961031
	;; [unrolled: 1-line block ×10, first 2 shown]
	.long	284542749                       ; 0x10f5c71d
	.long	1194648577                      ; 0x4734e401
	.long	3087899716                      ; 0xb80d9c44
	.long	3966595444                      ; 0xec6d7174
	.long	2088330116                      ; 0x7c796384
	.long	3641652062                      ; 0xd90f335e
	.long	327128507                       ; 0x137f95bb
	.long	593906557                       ; 0x23664b7d
	.long	1092448919                      ; 0x411d7297
	.long	2459189516                      ; 0x9294410c
	;; [unrolled: 1-line block ×5, first 2 shown]
	.long	470648997                       ; 0x1c0d88a5
	.long	1017041256                      ; 0x3c9ed168
	.long	3234172340                      ; 0xc0c58db4
	;; [unrolled: 1-line block ×9, first 2 shown]
	.long	638322822                       ; 0x260c0886
	.long	2369792461                      ; 0x8d4029cd
	.long	2869492261                      ; 0xab08fa25
	;; [unrolled: 1-line block ×8, first 2 shown]
	.long	167177896                       ; 0x9f6eea8
	.long	461294981                       ; 0x1b7ecd85
	.long	3988638998                      ; 0xedbdcd16
	.long	2937794823                      ; 0xaf1b3107
	;; [unrolled: 1-line block ×5, first 2 shown]
	.long	7261806                         ; 0x6ece6e
	.long	2669786265                      ; 0x9f21b499
	.long	1083582734                      ; 0x4096290e
	;; [unrolled: 1-line block ×7, first 2 shown]
	.long	343604199                       ; 0x147afbe7
	.long	3215604888                      ; 0xbfaa3c98
	.long	661024127                       ; 0x27666d7f
	.long	2931754053                      ; 0xaebf0445
	.long	3787840039                      ; 0xe1c5da27
	;; [unrolled: 1-line block ×3, first 2 shown]
	.long	363432336                       ; 0x15a98990
	.long	112334132                       ; 0x6b21534
	.long	2871797223                      ; 0xab2c25e7
	.long	138911320                       ; 0x8479e58
	.long	3981126938                      ; 0xed4b2d1a
	.long	2027332192                      ; 0x78d6a260
	;; [unrolled: 1-line block ×3, first 2 shown]
	.long	590150270                       ; 0x232cfa7e
	.long	641538574                       ; 0x263d1a0e
	.long	6802174                         ; 0x67cafe
	.long	3551446076                      ; 0xd3aec43c
	.long	3908480472                      ; 0xe8f6add8
	;; [unrolled: 1-line block ×5, first 2 shown]
	.long	154482247                       ; 0x9353647
	.long	121437972                       ; 0x73cff14
	.long	1215661323                      ; 0x4875850b
	.long	1178068273                      ; 0x4637e531
	;; [unrolled: 1-line block ×4, first 2 shown]
	.long	262636065                       ; 0xfa78221
	.long	2943371149                      ; 0xaf70478d
	.long	1768780720                      ; 0x696d73b0
	;; [unrolled: 1-line block ×5, first 2 shown]
	.long	629223947                       ; 0x2581320b
	.long	3380612330                      ; 0xc9800cea
	.long	3552916762                      ; 0xd3c5351a
	.long	197596340                       ; 0xbc714b4
	.long	573801686                       ; 0x223384d6
	.long	2049230598                      ; 0x7a24c706
	.long	2910471867                      ; 0xad7a46bb
	;; [unrolled: 1-line block ×5, first 2 shown]
	.long	726840185                       ; 0x2b52b379
	.long	1241204222                      ; 0x49fb45fe
	.long	2237574317                      ; 0x855eacad
	.long	70568042                        ; 0x434c86a
	.long	1932610099                      ; 0x73314a33
	.long	2221862221                      ; 0x846eed4d
	;; [unrolled: 1-line block ×6, first 2 shown]
	.long	803220151                       ; 0x2fe02ab7
	.long	70843412                        ; 0x438fc14
	.long	1661103032                      ; 0x63026bb8
	.long	1976811457                      ; 0x75d3bfc1
	;; [unrolled: 1-line block ×3, first 2 shown]
	.long	564259972                       ; 0x21a1ec84
	.long	1475436923                      ; 0x57f1617b
	.long	2260980893                      ; 0x86c3d49d
	.long	4245534505                      ; 0xfd0db729
	.long	1075107552                      ; 0x4014d6e0
	.long	3692990573                      ; 0xdc1e906d
	.long	370098873                       ; 0x160f42b9
	.long	4045905424                      ; 0xf1279e10
	.long	2420395420                      ; 0x90444d9c
	;; [unrolled: 1-line block ×3, first 2 shown]
	.long	207483321                       ; 0xc5df1b9
	.long	622317750                       ; 0x2517d0b6
	.long	3004242500                      ; 0xb3111a44
	.long	833623111                       ; 0x31b01447
	.long	3151161301                      ; 0xbbd2e7d5
	.long	1629139881                      ; 0x611ab3a9
	.long	352228793                       ; 0x14fe95b9
	.long	2439953368                      ; 0x916ebbd8
	.long	3183333619                      ; 0xbdbdd0f3
	;; [unrolled: 1-line block ×6, first 2 shown]
	.long	963394141                       ; 0x396c3a5d
	.long	4241612717                      ; 0xfcd1dfad
	.long	1034476784                      ; 0x3da8dcf0
	;; [unrolled: 1-line block ×9, first 2 shown]
	.long	333361555                       ; 0x13deb193
	.long	1133565821                      ; 0x4390d77d
	.long	1450937015                      ; 0x567b8ab7
	.long	616059115                       ; 0x24b850eb
	.long	3216393887                      ; 0xbfb6469f
	.long	3041978455                      ; 0xb550e857
	;; [unrolled: 1-line block ×4, first 2 shown]
	.long	512746184                       ; 0x1e8fe2c8
	.long	3256670217                      ; 0xc21cd809
	.long	1616316512                      ; 0x60570860
	;; [unrolled: 1-line block ×3, first 2 shown]
	.long	93474487                        ; 0x5924eb7
	.long	2865892488                      ; 0xaad20c88
	.long	1901471398                      ; 0x715626a6
	;; [unrolled: 1-line block ×7, first 2 shown]
	.long	808592927                       ; 0x3032261f
	.long	2945846737                      ; 0xaf960dd1
	.long	3487931071                      ; 0xcfe59abf
	;; [unrolled: 1-line block ×3, first 2 shown]
	.long	752981057                       ; 0x2ce19441
	.long	1097082589                      ; 0x416426dd
	.long	1307115286                      ; 0x4de8ff16
	.long	175147508                       ; 0xa7089f4
	.long	3611190164                      ; 0xd73e6394
	.long	850238914                       ; 0x32ad9dc2
	;; [unrolled: 2-line block ×3, first 2 shown]
	.long	328621708                       ; 0x13965e8c
	.long	3183670050                      ; 0xbdc2f322
	.long	3609998315                      ; 0xd72c33eb
	;; [unrolled: 1-line block ×8, first 2 shown]
	.long	950288337                       ; 0x38a43fd1
	.long	1117344941                      ; 0x429954ad
	.long	2150569143                      ; 0x802f14b7
	;; [unrolled: 1-line block ×4, first 2 shown]
	.long	888858617                       ; 0x34fae7f9
	.long	35840654                        ; 0x222e28e
	.long	2829539211                      ; 0xa8a7578b
	.long	2511395669                      ; 0x95b0db55
	;; [unrolled: 1-line block ×7, first 2 shown]
	.long	266766189                       ; 0xfe6876d
	.long	1522426851                      ; 0x5abe63e3
	.long	1903494122                      ; 0x717503ea
	;; [unrolled: 1-line block ×5, first 2 shown]
	.long	220280169                       ; 0xd213569
	.long	433606853                       ; 0x19d850c5
	.long	1428961479                      ; 0x552c38c7
	.long	986074592                       ; 0x3ac64de0
	.long	2128892987                      ; 0x7ee4543b
	;; [unrolled: 2-line block ×3, first 2 shown]
	.long	325674890                       ; 0x1369678a
	.long	444442578                       ; 0x1a7da7d2
	;; [unrolled: 1-line block ×3, first 2 shown]
	.long	1689709565                      ; 0x64b6ebfd
	.long	1493452467                      ; 0x590446b3
	;; [unrolled: 1-line block ×3, first 2 shown]
	.long	121114616                       ; 0x7380ff8
	.long	2134348225                      ; 0x7f3791c1
	.long	3512035688                      ; 0xd1556968
	;; [unrolled: 1-line block ×5, first 2 shown]
	.long	337534132                       ; 0x141e5cb4
	.long	1418548715                      ; 0x548d55eb
	.long	1190006478                      ; 0x46ee0ece
	.long	500654385                       ; 0x1dd76131
	.long	1766924757                      ; 0x695121d5
	.long	1944680746                      ; 0x73e9792a
	.long	940574010                       ; 0x3810053a
	.long	922744002                       ; 0x36fff4c2
	;; [unrolled: 1-line block ×3, first 2 shown]
	.long	3131162902                      ; 0xbaa1c116
	.long	1693891092                      ; 0x64f6ba14
	;; [unrolled: 1-line block ×14, first 2 shown]
	.long	382319031                       ; 0x16c9b9b7
	.long	1516937595                      ; 0x5a6aa17b
	.long	622543191                       ; 0x251b4157
	.long	1388990570                      ; 0x52ca506a
	.long	1749179860                      ; 0x68425dd4
	;; [unrolled: 1-line block ×4, first 2 shown]
	.long	472539197                       ; 0x1c2a603d
	.long	122872799                       ; 0x752e3df
	.long	2586347240                      ; 0x9a2886e8
	.long	880588515                       ; 0x347cb6e3
	.long	4046335279                      ; 0xf12e2d2f
	.long	1712182607                      ; 0x660dd54f
	;; [unrolled: 1-line block ×5, first 2 shown]
	.long	382216945                       ; 0x16c82af1
	.long	3733326081                      ; 0xde860901
	.long	460422073                       ; 0x1b717bb9
	.long	3872117793                      ; 0xe6cbd421
	.long	803220151                       ; 0x2fe02ab7
	.long	70843412                        ; 0x438fc14
	.long	1661103032                      ; 0x63026bb8
	.long	250339760                       ; 0xeebe1b0
	.long	2186373604                      ; 0x825169e4
	.long	564259972                       ; 0x21a1ec84
	.long	1475436923                      ; 0x57f1617b
	.long	2260980893                      ; 0x86c3d49d
	.long	657986735                       ; 0x273814af
	.long	1075107552                      ; 0x4014d6e0
	;; [unrolled: 3-line block ×3, first 2 shown]
	.long	3201950123                      ; 0xbed9e1ab
	.long	2332395402                      ; 0x8b05878a
	.long	207483321                       ; 0xc5df1b9
	.long	622317750                       ; 0x2517d0b6
	.long	3004242500                      ; 0xb3111a44
	.long	3732213278                      ; 0xde750e1e
	;; [unrolled: 1-line block ×4, first 2 shown]
	.long	352228793                       ; 0x14fe95b9
	.long	2439953368                      ; 0x916ebbd8
	.long	3572618926                      ; 0xd4f1d6ae
	;; [unrolled: 1-line block ×6, first 2 shown]
	.long	685933373                       ; 0x28e2833d
	.long	4241612717                      ; 0xfcd1dfad
	.long	1034476784                      ; 0x3da8dcf0
	;; [unrolled: 1-line block ×12, first 2 shown]
	.long	616059115                       ; 0x24b850eb
	.long	3216393887                      ; 0xbfb6469f
	.long	1733804102                      ; 0x6757c046
	;; [unrolled: 1-line block ×4, first 2 shown]
	.long	512746184                       ; 0x1e8fe2c8
	.long	3256670217                      ; 0xc21cd809
	.long	2651059231                      ; 0x9e03f41f
	;; [unrolled: 1-line block ×3, first 2 shown]
	.long	93474487                        ; 0x5924eb7
	.long	2865892488                      ; 0xaad20c88
	.long	1901471398                      ; 0x715626a6
	;; [unrolled: 1-line block ×11, first 2 shown]
	.long	752981057                       ; 0x2ce19441
	.long	2428033310                      ; 0x90b8d91e
	.long	1307115286                      ; 0x4de8ff16
	.long	175147508                       ; 0xa7089f4
	.long	3611190164                      ; 0xd73e6394
	.long	850238914                       ; 0x32ad9dc2
	;; [unrolled: 2-line block ×3, first 2 shown]
	.long	328621708                       ; 0x13965e8c
	.long	3183670050                      ; 0xbdc2f322
	.long	3609998315                      ; 0xd72c33eb
	;; [unrolled: 1-line block ×7, first 2 shown]
	.long	290361143                       ; 0x114e8f37
	.long	950288337                       ; 0x38a43fd1
	.long	1117344941                      ; 0x429954ad
	.long	2150569143                      ; 0x802f14b7
	;; [unrolled: 1-line block ×3, first 2 shown]
	.long	168826051                       ; 0xa1014c3
	.long	888858617                       ; 0x34fae7f9
	.long	35840654                        ; 0x222e28e
	.long	2829539211                      ; 0xa8a7578b
	.long	2511395669                      ; 0x95b0db55
	.long	2890882060                      ; 0xac4f5c0c
	.long	3278412778                      ; 0xc3689bea
	.long	2249895907                      ; 0x861aafe3
	.long	1320858068                      ; 0x4ebab1d4
	.long	3576889788                      ; 0xd53301bc
	.long	1794920145                      ; 0x6afc4ed1
	.long	1522426851                      ; 0x5abe63e3
	.long	1903494122                      ; 0x717503ea
	.long	1928370573                      ; 0x72f0998d
	.long	2628132591                      ; 0x9ca61eef
	.long	1251697758                      ; 0x4a9b645e
	.long	220280169                       ; 0xd213569
	.long	433606853                       ; 0x19d850c5
	.long	1428961479                      ; 0x552c38c7
	.long	986074592                       ; 0x3ac64de0
	.long	2707115661                      ; 0xa15b4e8d
	;; [unrolled: 2-line block ×3, first 2 shown]
	.long	325674890                       ; 0x1369678a
	.long	444442578                       ; 0x1a7da7d2
	;; [unrolled: 1-line block ×3, first 2 shown]
	.long	1689709565                      ; 0x64b6ebfd
	.long	1493452467                      ; 0x590446b3
	;; [unrolled: 1-line block ×3, first 2 shown]
	.long	121114616                       ; 0x7380ff8
	.long	3425723636                      ; 0xcc3064f4
	.long	3512035688                      ; 0xd1556968
	;; [unrolled: 1-line block ×8, first 2 shown]
	.long	500654385                       ; 0x1dd76131
	.long	1766924757                      ; 0x695121d5
	.long	3920475367                      ; 0xe9adb4e7
	.long	940574010                       ; 0x3810053a
	.long	922744002                       ; 0x36fff4c2
	;; [unrolled: 1-line block ×3, first 2 shown]
	.long	3131162902                      ; 0xbaa1c116
	.long	54639113                        ; 0x341ba09
	.long	3031823448                      ; 0xb4b5f458
	.long	2143051534                      ; 0x7fbc5f0e
	;; [unrolled: 1-line block ×12, first 2 shown]
	.long	382319031                       ; 0x16c9b9b7
	.long	1516937595                      ; 0x5a6aa17b
	.long	3508441679                      ; 0xd11e924f
	;; [unrolled: 1-line block ×7, first 2 shown]
	.long	122872799                       ; 0x752e3df
	.long	2586347240                      ; 0x9a2886e8
	.long	880588515                       ; 0x347cb6e3
	.long	4046335279                      ; 0xf12e2d2f
	.long	2958058367                      ; 0xb050637f
	;; [unrolled: 1-line block ×5, first 2 shown]
	.long	382216945                       ; 0x16c82af1
	.long	450517882                       ; 0x1ada5b7a
	.long	460422073                       ; 0x1b717bb9
	.long	3872117793                      ; 0xe6cbd421
	.long	803220151                       ; 0x2fe02ab7
	.long	70843412                        ; 0x438fc14
	.long	2066343874                      ; 0x7b29e7c2
	.long	250339760                       ; 0xeebe1b0
	.long	2186373604                      ; 0x825169e4
	.long	564259972                       ; 0x21a1ec84
	.long	1475436923                      ; 0x57f1617b
	.long	1683787449                      ; 0x645c8eb9
	.long	657986735                       ; 0x273814af
	.long	1075107552                      ; 0x4014d6e0
	;; [unrolled: 3-line block ×3, first 2 shown]
	.long	3201950123                      ; 0xbed9e1ab
	.long	2332395402                      ; 0x8b05878a
	.long	207483321                       ; 0xc5df1b9
	.long	622317750                       ; 0x2517d0b6
	.long	2655424371                      ; 0x9e468f73
	.long	3732213278                      ; 0xde750e1e
	;; [unrolled: 1-line block ×4, first 2 shown]
	.long	352228793                       ; 0x14fe95b9
	.long	3236724760                      ; 0xc0ec8018
	.long	3572618926                      ; 0xd4f1d6ae
	;; [unrolled: 1-line block ×5, first 2 shown]
	.long	9775065                         ; 0x9527d9
	.long	685933373                       ; 0x28e2833d
	.long	4241612717                      ; 0xfcd1dfad
	.long	1034476784                      ; 0x3da8dcf0
	;; [unrolled: 1-line block ×12, first 2 shown]
	.long	616059115                       ; 0x24b850eb
	.long	3666188236                      ; 0xda8597cc
	.long	1733804102                      ; 0x6757c046
	;; [unrolled: 1-line block ×4, first 2 shown]
	.long	512746184                       ; 0x1e8fe2c8
	.long	3900473826                      ; 0xe87c81e2
	.long	2651059231                      ; 0x9e03f41f
	;; [unrolled: 1-line block ×3, first 2 shown]
	.long	93474487                        ; 0x5924eb7
	.long	2865892488                      ; 0xaad20c88
	.long	222759186                       ; 0xd470912
	.long	2113461797                      ; 0x7df8de25
	.long	2178431077                      ; 0x81d83865
	;; [unrolled: 1-line block ×12, first 2 shown]
	.long	175147508                       ; 0xa7089f4
	.long	3611190164                      ; 0xd73e6394
	.long	1909211603                      ; 0x71cc41d3
	;; [unrolled: 1-line block ×3, first 2 shown]
	.long	199743319                       ; 0xbe7d757
	.long	328621708                       ; 0x13965e8c
	.long	3183670050                      ; 0xbdc2f322
	.long	1680331218                      ; 0x6427d1d2
	;; [unrolled: 1-line block ×7, first 2 shown]
	.long	290361143                       ; 0x114e8f37
	.long	950288337                       ; 0x38a43fd1
	.long	1117344941                      ; 0x429954ad
	.long	2150569143                      ; 0x802f14b7
	;; [unrolled: 1-line block ×3, first 2 shown]
	.long	168826051                       ; 0xa1014c3
	.long	888858617                       ; 0x34fae7f9
	.long	35840654                        ; 0x222e28e
	.long	2829539211                      ; 0xa8a7578b
	.long	645798943                       ; 0x267e1c1f
	.long	2890882060                      ; 0xac4f5c0c
	.long	3278412778                      ; 0xc3689bea
	;; [unrolled: 1-line block ×11, first 2 shown]
	.long	220280169                       ; 0xd213569
	.long	433606853                       ; 0x19d850c5
	.long	1428961479                      ; 0x552c38c7
	.long	3724415861                      ; 0xddfe1375
	.long	2707115661                      ; 0xa15b4e8d
	.long	467697583                       ; 0x1be07faf
	.long	1616913929                      ; 0x60602609
	.long	325674890                       ; 0x1369678a
	.long	1448052253                      ; 0x564f861d
	;; [unrolled: 2-line block ×3, first 2 shown]
	.long	1493452467                      ; 0x590446b3
	.long	2222122038                      ; 0x8472e436
	;; [unrolled: 1-line block ×11, first 2 shown]
	.long	500654385                       ; 0x1dd76131
	.long	1106232                         ; 0x10e138
	.long	3920475367                      ; 0xe9adb4e7
	.long	940574010                       ; 0x3810053a
	.long	922744002                       ; 0x36fff4c2
	;; [unrolled: 1-line block ×3, first 2 shown]
	.long	4144806511                      ; 0xf70cba6f
	.long	54639113                        ; 0x341ba09
	.long	3031823448                      ; 0xb4b5f458
	.long	2143051534                      ; 0x7fbc5f0e
	;; [unrolled: 1-line block ×8, first 2 shown]
	.long	428527087                       ; 0x198acdef
	.long	1601035152                      ; 0x5f6ddb90
	.long	3225501736                      ; 0xc0414028
	;; [unrolled: 1-line block ×3, first 2 shown]
	.long	382319031                       ; 0x16c9b9b7
	.long	2565464472                      ; 0x98e9e198
	.long	3508441679                      ; 0xd11e924f
	;; [unrolled: 1-line block ×7, first 2 shown]
	.long	122872799                       ; 0x752e3df
	.long	2586347240                      ; 0x9a2886e8
	.long	880588515                       ; 0x347cb6e3
	.long	597822462                       ; 0x23a20bfe
	.long	2958058367                      ; 0xb050637f
	.long	4270737941                      ; 0xfe8e4a15
	;; [unrolled: 1-line block ×5, first 2 shown]
	.long	450517882                       ; 0x1ada5b7a
	.long	460422073                       ; 0x1b717bb9
	.long	3872117793                      ; 0xe6cbd421
	.long	803220151                       ; 0x2fe02ab7
	.long	801648827                       ; 0x2fc830bb
	.long	2066343874                      ; 0x7b29e7c2
	.long	250339760                       ; 0xeebe1b0
	.long	2186373604                      ; 0x825169e4
	.long	564259972                       ; 0x21a1ec84
	.long	3417948976                      ; 0xcbb9c330
	.long	1683787449                      ; 0x645c8eb9
	.long	657986735                       ; 0x273814af
	.long	1075107552                      ; 0x4014d6e0
	.long	3692990573                      ; 0xdc1e906d
	;; [unrolled: 1-line block ×6, first 2 shown]
	.long	207483321                       ; 0xc5df1b9
	.long	699310933                       ; 0x29aea355
	.long	2655424371                      ; 0x9e468f73
	.long	3732213278                      ; 0xde750e1e
	;; [unrolled: 1-line block ×10, first 2 shown]
	.long	9775065                         ; 0x9527d9
	.long	685933373                       ; 0x28e2833d
	.long	4241612717                      ; 0xfcd1dfad
	.long	1034476784                      ; 0x3da8dcf0
	;; [unrolled: 1-line block ×7, first 2 shown]
	.long	252854480                       ; 0xf1240d0
	.long	1509475888                      ; 0x59f8c630
	.long	2355603679                      ; 0x8c67a8df
	;; [unrolled: 1-line block ×13, first 2 shown]
	.long	93474487                        ; 0x5924eb7
	.long	1862985957                      ; 0x6f0ae8e5
	.long	222759186                       ; 0xd470912
	.long	2113461797                      ; 0x7df8de25
	.long	2178431077                      ; 0x81d83865
	.long	2325598341                      ; 0x8a9dd085
	.long	4179075132                      ; 0xf917a03c
	.long	2505499508                      ; 0x9556e374
	.long	2986990416                      ; 0xb209db50
	.long	2945846737                      ; 0xaf960dd1
	.long	3487931071                      ; 0xcfe59abf
	.long	564667776                       ; 0x21a82580
	.long	2766733928                      ; 0xa4e90268
	.long	2428033310                      ; 0x90b8d91e
	;; [unrolled: 1-line block ×3, first 2 shown]
	.long	175147508                       ; 0xa7089f4
	.long	1759077815                      ; 0x68d965b7
	.long	1909211603                      ; 0x71cc41d3
	;; [unrolled: 1-line block ×3, first 2 shown]
	.long	199743319                       ; 0xbe7d757
	.long	328621708                       ; 0x13965e8c
	.long	2552816198                      ; 0x9828e246
	.long	1680331218                      ; 0x6427d1d2
	;; [unrolled: 1-line block ×7, first 2 shown]
	.long	290361143                       ; 0x114e8f37
	.long	950288337                       ; 0x38a43fd1
	.long	1117344941                      ; 0x429954ad
	.long	2897506172                      ; 0xacb46f7c
	;; [unrolled: 1-line block ×3, first 2 shown]
	.long	168826051                       ; 0xa1014c3
	.long	888858617                       ; 0x34fae7f9
	.long	35840654                        ; 0x222e28e
	.long	2035476068                      ; 0x7952e664
	.long	645798943                       ; 0x267e1c1f
	.long	2890882060                      ; 0xac4f5c0c
	.long	3278412778                      ; 0xc3689bea
	;; [unrolled: 1-line block ×11, first 2 shown]
	.long	220280169                       ; 0xd213569
	.long	433606853                       ; 0x19d850c5
	.long	3914497854                      ; 0xe9527f3e
	.long	3724415861                      ; 0xddfe1375
	.long	2707115661                      ; 0xa15b4e8d
	.long	467697583                       ; 0x1be07faf
	.long	1616913929                      ; 0x60602609
	.long	918435305                       ; 0x36be35e9
	.long	1448052253                      ; 0x564f861d
	;; [unrolled: 2-line block ×3, first 2 shown]
	.long	1493452467                      ; 0x590446b3
	.long	609575172                       ; 0x24556104
	.long	2177448198                      ; 0x81c93906
	.long	3425723636                      ; 0xcc3064f4
	.long	3512035688                      ; 0xd1556968
	.long	1283058921                      ; 0x4c79ece9
	.long	3661181550                      ; 0xda39326e
	.long	3050940272                      ; 0xb5d9a770
	.long	1646155473                      ; 0x621e56d1
	.long	1418548715                      ; 0x548d55eb
	.long	1190006478                      ; 0x46ee0ece
	.long	1047301661                      ; 0x3e6c8e1d
	.long	1106232                         ; 0x10e138
	.long	3920475367                      ; 0xe9adb4e7
	.long	940574010                       ; 0x3810053a
	.long	922744002                       ; 0x36fff4c2
	.long	2510633517                      ; 0x95a53a2d
	.long	4144806511                      ; 0xf70cba6f
	.long	54639113                        ; 0x341ba09
	.long	3031823448                      ; 0xb4b5f458
	.long	2143051534                      ; 0x7fbc5f0e
	;; [unrolled: 1-line block ×7, first 2 shown]
	.long	736638210                       ; 0x2be83502
	.long	428527087                       ; 0x198acdef
	.long	1601035152                      ; 0x5f6ddb90
	.long	3225501736                      ; 0xc0414028
	;; [unrolled: 1-line block ×8, first 2 shown]
	.long	84517579                        ; 0x509a2cb
	.long	1737735237                      ; 0x6793bc45
	.long	2835403456                      ; 0xa900d2c0
	.long	122872799                       ; 0x752e3df
	.long	2586347240                      ; 0x9a2886e8
	.long	4002124614                      ; 0xee8b9346
	.long	597822462                       ; 0x23a20bfe
	.long	2958058367                      ; 0xb050637f
	.long	4270737941                      ; 0xfe8e4a15
	;; [unrolled: 1-line block ×5, first 2 shown]
	.long	700631413                       ; 0x29c2c975
	.long	1497890797                      ; 0x5947ffed
	.long	1195347450                      ; 0x473f8dfa
	;; [unrolled: 1-line block ×5, first 2 shown]
	.long	747913260                       ; 0x2c94402c
	.long	240954704                       ; 0xe5cad50
	.long	3107512667                      ; 0xb938e15b
	.long	360584144                       ; 0x157e13d0
	.long	3422778960                      ; 0xcc037650
	.long	3516528389                      ; 0xd199f705
	;; [unrolled: 1-line block ×4, first 2 shown]
	.long	122269053                       ; 0x749ad7d
	.long	1579582456                      ; 0x5e2683f8
	.long	873334104                       ; 0x340e0558
	.long	3918835024                      ; 0xe994ad50
	.long	1731872444                      ; 0x673a46bc
	;; [unrolled: 1-line block ×10, first 2 shown]
	.long	128641660                       ; 0x7aaea7c
	.long	1744777659                      ; 0x67ff31bb
	.long	3173116729                      ; 0xbd21eb39
	.long	983733754                       ; 0x3aa295fa
	.long	1430789547                      ; 0x55481dab
	.long	701906842                       ; 0x29d63f9a
	.long	3367232568                      ; 0xc8b3e438
	.long	3266433501                      ; 0xc2b1d1dd
	;; [unrolled: 1-line block ×5, first 2 shown]
	.long	993786201                       ; 0x3b3bf959
	.long	2149441250                      ; 0x801ddee2
	.long	1295181065                      ; 0x4d32e509
	;; [unrolled: 1-line block ×6, first 2 shown]
	.long	483873127                       ; 0x1cd75167
	.long	102227292                       ; 0x617dd5c
	.long	2626265293                      ; 0x9c89a0cd
	.long	2018984578                      ; 0x78574282
	;; [unrolled: 1-line block ×5, first 2 shown]
	.long	583672623                       ; 0x22ca232f
	.long	2230473473                      ; 0x84f25301
	.long	1995194269                      ; 0x76ec3f9d
	;; [unrolled: 1-line block ×8, first 2 shown]
	.long	773027539                       ; 0x2e1376d3
	.long	3646876518                      ; 0xd95eeb66
	.long	2272586839                      ; 0x8774ec57
	.long	493318726                       ; 0x1d677246
	.long	2107067517                      ; 0x7d974c7d
	.long	2000805278                      ; 0x7741dd9e
	.long	2530829636                      ; 0x96d96544
	.long	3183628745                      ; 0xbdc251c9
	.long	677565332                       ; 0x2862d394
	.long	1497629423                      ; 0x594402ef
	.long	82094920                        ; 0x4e4ab48
	.long	2214054433                      ; 0x83f7ca21
	.long	2635367545                      ; 0x9d148479
	.long	470855467                       ; 0x1c10af2b
	.long	2184853389                      ; 0x823a378d
	.long	2942188934                      ; 0xaf5e3d86
	.long	188335670                       ; 0xb39c636
	.long	3656661644                      ; 0xd9f43a8c
	.long	1883526235                      ; 0x7044545b
	;; [unrolled: 1-line block ×11, first 2 shown]
	.long	15372456                        ; 0xea90a8
	.long	1614496594                      ; 0x603b4352
	.long	2364847678                      ; 0x8cf4b63e
	;; [unrolled: 1-line block ×3, first 2 shown]
	.long	422365460                       ; 0x192cc914
	.long	4195174772                      ; 0xfa0d4974
	.long	3266964836                      ; 0xc2b9ed64
	;; [unrolled: 1-line block ×3, first 2 shown]
	.long	54038434                        ; 0x3388fa2
	.long	781948549                       ; 0x2e9b9685
	.long	1276017666                      ; 0x4c0e7c02
	.long	2756376612                      ; 0xa44af824
	;; [unrolled: 1-line block ×7, first 2 shown]
	.long	345375815                       ; 0x14960447
	.long	2081905201                      ; 0x7c175a31
	.long	2227278118                      ; 0x84c19126
	;; [unrolled: 1-line block ×6, first 2 shown]
	.long	541632942                       ; 0x2048a9ae
	.long	1830210248                      ; 0x6d16cac8
	.long	3757851982                      ; 0xdffc454e
	.long	775883450                       ; 0x2e3f0aba
	.long	1666577465                      ; 0x6355f439
	.long	1004944607                      ; 0x3be63cdf
	;; [unrolled: 3-line block ×3, first 2 shown]
	.long	370164841                       ; 0x16104469
	.long	3649112729                      ; 0xd9810a99
	.long	37066142                        ; 0x235959e
	.long	2311278904                      ; 0x89c35138
	.long	1935745497                      ; 0x736121d9
	;; [unrolled: 1-line block ×9, first 2 shown]
	.long	857978496                       ; 0x3323b680
	.long	1039346432                      ; 0x3df32b00
	.long	2621413355                      ; 0x9c3f97eb
	.long	29961014                        ; 0x1c92b36
	.long	3582263091                      ; 0xd584ff33
	.long	4268542513                      ; 0xfe6cca31
	;; [unrolled: 1-line block ×7, first 2 shown]
	.long	319800326                       ; 0x130fc406
	.long	3255916105                      ; 0xc2115649
	.long	2430273059                      ; 0x90db0623
	.long	823505311                       ; 0x3115b19f
	.long	874255188                       ; 0x341c1354
	.long	1401925393                      ; 0x538faf11
	.long	4203707857                      ; 0xfa8f7dd1
	;; [unrolled: 1-line block ×7, first 2 shown]
	.long	412510348                       ; 0x1896688c
	.long	4052471963                      ; 0xf18bd09b
	.long	683640040                       ; 0x28bf84e8
	.long	3043876021                      ; 0xb56ddcb5
	.long	3466644483                      ; 0xcea0cc03
	;; [unrolled: 1-line block ×5, first 2 shown]
	.long	18198088                        ; 0x115ae48
	.long	3410320851                      ; 0xcb455dd3
	.long	3040963721                      ; 0xb5416c89
	.long	488404231                       ; 0x1d1c7507
	.long	3157371815                      ; 0xbc31aba7
	.long	769336092                       ; 0x2ddb231c
	;; [unrolled: 2-line block ×4, first 2 shown]
	.long	3123726486                      ; 0xba304896
	.long	3284240985                      ; 0xc3c18a59
	;; [unrolled: 1-line block ×4, first 2 shown]
	.long	512836002                       ; 0x1e9141a2
	.long	2715428547                      ; 0xa1da26c3
	.long	4182302879                      ; 0xf948e09f
	;; [unrolled: 1-line block ×4, first 2 shown]
	.long	390292489                       ; 0x17436409
	.long	980889545                       ; 0x3a772fc9
	.long	2776206633                      ; 0xa5798d29
	.long	2482799995                      ; 0x93fc857b
	.long	617042280                       ; 0x24c75168
	.long	3501667414                      ; 0xd0b73456
	.long	689451808                       ; 0x29183320
	.long	497018701                       ; 0x1d9fe74d
	;; [unrolled: 1-line block ×3, first 2 shown]
	.long	3890163301                      ; 0xe7df2e65
	.long	896679896                       ; 0x35723fd8
	.long	1544533015                      ; 0x5c0fb417
	.long	3412477225                      ; 0xcb664529
	.long	3116575138                      ; 0xb9c329a2
	.long	4250402651                      ; 0xfd57ff5b
	.long	3990990746                      ; 0xede1af9a
	.long	819056741                       ; 0x30d1d065
	.long	1459334146                      ; 0x56fbac02
	.long	158377590                       ; 0x970a676
	.long	3444755752                      ; 0xcd52cd28
	.long	8230450                         ; 0x7d9632
	.long	1378706455                      ; 0x522d6417
	.long	684191332                       ; 0x28c7ee64
	.long	3217423797                      ; 0xbfc5fdb5
	.long	2842520097                      ; 0xa96d6a21
	;; [unrolled: 1-line block ×4, first 2 shown]
	.long	959644473                       ; 0x39330339
	.long	1020694107                      ; 0x3cd68e5b
	.long	1748401915                      ; 0x68367efb
	;; [unrolled: 1-line block ×8, first 2 shown]
	.long	870094953                       ; 0x33dc9869
	.long	2306851481                      ; 0x897fc299
	.long	571550601                       ; 0x22112b89
	.long	488878212                       ; 0x1d23b084
	;; [unrolled: 1-line block ×3, first 2 shown]
	.long	2630100528                      ; 0x9cc42630
	.long	2067476907                      ; 0x7b3b31ab
	;; [unrolled: 1-line block ×4, first 2 shown]
	.long	115875280                       ; 0x6e81dd0
	.long	2905867426                      ; 0xad3404a2
	.long	248774881                       ; 0xed400e1
	.long	3110900450                      ; 0xb96c92e2
	.long	2236032812                      ; 0x8547272c
	;; [unrolled: 1-line block ×3, first 2 shown]
	.long	708001855                       ; 0x2a33403f
	.long	996960491                       ; 0x3b6c68eb
	.long	3514196956                      ; 0xd17663dc
	.long	1407967546                      ; 0x53ebe13a
	;; [unrolled: 1-line block ×18, first 2 shown]
	.long	382467042                       ; 0x16cbfbe2
	.long	2745477587                      ; 0xa3a4a9d3
	.long	1209424459                      ; 0x48165a4b
	.long	811187075                       ; 0x3059bb83
	.long	1385604734                      ; 0x5296a67e
	.long	2623887355                      ; 0x9c6557fb
	;; [unrolled: 1-line block ×3, first 2 shown]
	.long	394141555                       ; 0x177e1f73
	.long	4142998949                      ; 0xf6f125a5
	.long	4195414618                      ; 0xfa10f25a
	;; [unrolled: 1-line block ×5, first 2 shown]
	.long	84131191                        ; 0x503bd77
	.long	4387588                         ; 0x42f304
	.long	2641405140                      ; 0x9d70a4d4
	.long	3525405389                      ; 0xd2216acd
	;; [unrolled: 1-line block ×3, first 2 shown]
	.long	423660319                       ; 0x19408b1f
	.long	2366546732                      ; 0x8d0ea32c
	.long	3698878607                      ; 0xdc78688f
	;; [unrolled: 1-line block ×12, first 2 shown]
	.long	999513506                       ; 0x3b935da2
	.long	2200093802                      ; 0x8322c46a
	.long	4141037460                      ; 0xf6d33794
	.long	351865836                       ; 0x14f90bec
	.long	412875013                       ; 0x189bf905
	.long	1535823315                      ; 0x5b8acdd3
	.long	3880657632                      ; 0xe74e22e0
	;; [unrolled: 1-line block ×5, first 2 shown]
	.long	584875517                       ; 0x22dc7dfd
	.long	2635241084                      ; 0x9d12967c
	.long	3834145971                      ; 0xe4886cb3
	;; [unrolled: 1-line block ×4, first 2 shown]
	.long	934775214                       ; 0x37b789ae
	.long	1960588847                      ; 0x74dc362f
	.long	2226778032                      ; 0x84b9efb0
	;; [unrolled: 1-line block ×3, first 2 shown]
	.long	12199016                        ; 0xba2468
	.long	1120582000                      ; 0x42cab970
	.long	226430296                       ; 0xd7f0d58
	.long	665553142                       ; 0x27ab88f6
	.long	2570993348                      ; 0x993e3ec4
	.long	1685535237                      ; 0x64773a05
	;; [unrolled: 1-line block ×6, first 2 shown]
	.long	808835317                       ; 0x3035d8f5
	.long	3295908896                      ; 0xc4739420
	.long	4170076136                      ; 0xf88e4fe8
	;; [unrolled: 1-line block ×4, first 2 shown]
	.long	683640040                       ; 0x28bf84e8
	.long	3043876021                      ; 0xb56ddcb5
	.long	3466644483                      ; 0xcea0cc03
	;; [unrolled: 1-line block ×5, first 2 shown]
	.long	18198088                        ; 0x115ae48
	.long	3410320851                      ; 0xcb455dd3
	.long	2171386836                      ; 0x816cbbd4
	.long	488404231                       ; 0x1d1c7507
	.long	3157371815                      ; 0xbc31aba7
	.long	769336092                       ; 0x2ddb231c
	.long	3240417718                      ; 0xc124d9b6
	.long	2921774554                      ; 0xae26bdda
	;; [unrolled: 1-line block ×3, first 2 shown]
	.long	835026995                       ; 0x31c58033
	.long	3123726486                      ; 0xba304896
	.long	3284240985                      ; 0xc3c18a59
	.long	72352110                        ; 0x450016e
	.long	3606056482                      ; 0xd6f00e22
	.long	512836002                       ; 0x1e9141a2
	.long	2715428547                      ; 0xa1da26c3
	.long	4182302879                      ; 0xf948e09f
	;; [unrolled: 1-line block ×4, first 2 shown]
	.long	390292489                       ; 0x17436409
	.long	980889545                       ; 0x3a772fc9
	.long	2776206633                      ; 0xa5798d29
	.long	1385691983                      ; 0x5297fb4f
	.long	617042280                       ; 0x24c75168
	.long	3501667414                      ; 0xd0b73456
	.long	689451808                       ; 0x29183320
	.long	497018701                       ; 0x1d9fe74d
	.long	2600411809                      ; 0x9aff22a1
	.long	3890163301                      ; 0xe7df2e65
	.long	896679896                       ; 0x35723fd8
	.long	1544533015                      ; 0x5c0fb417
	.long	3412477225                      ; 0xcb664529
	.long	356556378                       ; 0x15409e5a
	.long	4250402651                      ; 0xfd57ff5b
	.long	3990990746                      ; 0xede1af9a
	.long	819056741                       ; 0x30d1d065
	.long	1459334146                      ; 0x56fbac02
	.long	199003993                       ; 0xbdc8f59
	.long	3444755752                      ; 0xcd52cd28
	.long	8230450                         ; 0x7d9632
	.long	1378706455                      ; 0x522d6417
	.long	684191332                       ; 0x28c7ee64
	.long	1750733272                      ; 0x685a11d8
	.long	2842520097                      ; 0xa96d6a21
	;; [unrolled: 1-line block ×4, first 2 shown]
	.long	959644473                       ; 0x39330339
	.long	2113375576                      ; 0x7df78d58
	.long	1748401915                      ; 0x68367efb
	;; [unrolled: 1-line block ×5, first 2 shown]
	.long	275473920                       ; 0x106b6600
	.long	2394613217                      ; 0x8ebae5e1
	.long	2091953150                      ; 0x7cb0abfe
	.long	870094953                       ; 0x33dc9869
	.long	2306851481                      ; 0x897fc299
	.long	897057645                       ; 0x3578036d
	.long	488878212                       ; 0x1d23b084
	;; [unrolled: 1-line block ×3, first 2 shown]
	.long	2630100528                      ; 0x9cc42630
	.long	2067476907                      ; 0x7b3b31ab
	.long	944114068                       ; 0x38460994
	.long	2026119728                      ; 0x78c42230
	.long	115875280                       ; 0x6e81dd0
	;; [unrolled: 2-line block ×3, first 2 shown]
	.long	989201307                       ; 0x3af6039b
	.long	2236032812                      ; 0x8547272c
	.long	1888510348                      ; 0x7090618c
	.long	708001855                       ; 0x2a33403f
	.long	996960491                       ; 0x3b6c68eb
	.long	2121706374                      ; 0x7e76ab86
	.long	1407967546                      ; 0x53ebe13a
	;; [unrolled: 1-line block ×18, first 2 shown]
	.long	382467042                       ; 0x16cbfbe2
	.long	2745477587                      ; 0xa3a4a9d3
	.long	81977310                        ; 0x4e2dfde
	.long	811187075                       ; 0x3059bb83
	.long	1385604734                      ; 0x5296a67e
	.long	2623887355                      ; 0x9c6557fb
	;; [unrolled: 1-line block ×8, first 2 shown]
	.long	337182869                       ; 0x14190095
	.long	84131191                        ; 0x503bd77
	.long	4387588                         ; 0x42f304
	.long	2641405140                      ; 0x9d70a4d4
	.long	3525405389                      ; 0xd2216acd
	.long	661876463                       ; 0x27736eef
	.long	423660319                       ; 0x19408b1f
	.long	2366546732                      ; 0x8d0ea32c
	.long	3698878607                      ; 0xdc78688f
	;; [unrolled: 1-line block ×3, first 2 shown]
	.long	309510684                       ; 0x1272c21c
	.long	3029102089                      ; 0xb48c6e09
	.long	2692507376                      ; 0xa07c66f0
	.long	3266869596                      ; 0xc2b8795c
	.long	1658012061                      ; 0x62d3419d
	.long	11119541                        ; 0xa9abb5
	.long	1002311379                      ; 0x3bbe0ed3
	.long	3724446882                      ; 0xddfe8ca2
	;; [unrolled: 1-line block ×3, first 2 shown]
	.long	999513506                       ; 0x3b935da2
	.long	3486722046                      ; 0xcfd327fe
	.long	4141037460                      ; 0xf6d33794
	.long	351865836                       ; 0x14f90bec
	.long	412875013                       ; 0x189bf905
	.long	1535823315                      ; 0x5b8acdd3
	.long	2818130700                      ; 0xa7f9430c
	;; [unrolled: 1-line block ×5, first 2 shown]
	.long	584875517                       ; 0x22dc7dfd
	.long	322875622                       ; 0x133eb0e6
	.long	3834145971                      ; 0xe4886cb3
	.long	1693380373                      ; 0x64eeef15
	;; [unrolled: 1-line block ×3, first 2 shown]
	.long	934775214                       ; 0x37b789ae
	.long	3879414752                      ; 0xe73b2be0
	.long	2226778032                      ; 0x84b9efb0
	;; [unrolled: 1-line block ×3, first 2 shown]
	.long	12199016                        ; 0xba2468
	.long	1120582000                      ; 0x42cab970
	.long	4207259464                      ; 0xfac5af48
	.long	665553142                       ; 0x27ab88f6
	.long	2570993348                      ; 0x993e3ec4
	.long	1685535237                      ; 0x64773a05
	.long	3325420136                      ; 0xc635e268
	.long	553869152                       ; 0x21035f60
	.long	2855346376                      ; 0xaa3120c8
	.long	1205558328                      ; 0x47db5c38
	.long	808835317                       ; 0x3035d8f5
	.long	3295908896                      ; 0xc4739420
	.long	470585896                       ; 0x1c0c9228
	.long	2438272365                      ; 0x9155156d
	.long	4052471963                      ; 0xf18bd09b
	.long	683640040                       ; 0x28bf84e8
	.long	3043876021                      ; 0xb56ddcb5
	.long	1588419572                      ; 0x5ead5bf4
	;; [unrolled: 1-line block ×5, first 2 shown]
	.long	18198088                        ; 0x115ae48
	.long	363815288                       ; 0x15af6178
	.long	2171386836                      ; 0x816cbbd4
	.long	488404231                       ; 0x1d1c7507
	.long	3157371815                      ; 0xbc31aba7
	;; [unrolled: 2-line block ×3, first 2 shown]
	.long	2921774554                      ; 0xae26bdda
	.long	2075839263                      ; 0x7bbacb1f
	.long	835026995                       ; 0x31c58033
	.long	3123726486                      ; 0xba304896
	.long	4229246330                      ; 0xfc152d7a
	.long	72352110                        ; 0x450016e
	.long	3606056482                      ; 0xd6f00e22
	.long	512836002                       ; 0x1e9141a2
	.long	2715428547                      ; 0xa1da26c3
	.long	319830805                       ; 0x13103b15
	.long	3869483469                      ; 0xe6a3a1cd
	.long	3160187826                      ; 0xbc5ca3b2
	.long	390292489                       ; 0x17436409
	.long	980889545                       ; 0x3a772fc9
	.long	2966401462                      ; 0xb0cfb1b6
	.long	1385691983                      ; 0x5297fb4f
	.long	617042280                       ; 0x24c75168
	.long	3501667414                      ; 0xd0b73456
	.long	689451808                       ; 0x29183320
	.long	4047377762                      ; 0xf13e1562
	.long	2600411809                      ; 0x9aff22a1
	;; [unrolled: 1-line block ×3, first 2 shown]
	.long	896679896                       ; 0x35723fd8
	.long	1544533015                      ; 0x5c0fb417
	.long	764316452                       ; 0x2d8e8b24
	.long	356556378                       ; 0x15409e5a
	.long	4250402651                      ; 0xfd57ff5b
	.long	3990990746                      ; 0xede1af9a
	.long	819056741                       ; 0x30d1d065
	.long	965331966                       ; 0x3989cbfe
	;; [unrolled: 1-line block ×3, first 2 shown]
	.long	3444755752                      ; 0xcd52cd28
	.long	8230450                         ; 0x7d9632
	.long	1378706455                      ; 0x522d6417
	.long	51902971                        ; 0x317f9fb
	.long	1750733272                      ; 0x685a11d8
	.long	2842520097                      ; 0xa96d6a21
	;; [unrolled: 1-line block ×4, first 2 shown]
	.long	426039404                       ; 0x1964d86c
	.long	2113375576                      ; 0x7df78d58
	.long	1748401915                      ; 0x68367efb
	;; [unrolled: 1-line block ×5, first 2 shown]
	.long	275473920                       ; 0x106b6600
	.long	2394613217                      ; 0x8ebae5e1
	.long	2091953150                      ; 0x7cb0abfe
	.long	870094953                       ; 0x33dc9869
	.long	3524323828                      ; 0xd210e9f4
	.long	897057645                       ; 0x3578036d
	.long	488878212                       ; 0x1d23b084
	;; [unrolled: 1-line block ×3, first 2 shown]
	.long	2630100528                      ; 0x9cc42630
	.long	3939852929                      ; 0xead56281
	.long	944114068                       ; 0x38460994
	.long	2026119728                      ; 0x78c42230
	.long	115875280                       ; 0x6e81dd0
	.long	2905867426                      ; 0xad3404a2
	.long	3192643919                      ; 0xbe4be14f
	.long	989201307                       ; 0x3af6039b
	.long	2236032812                      ; 0x8547272c
	;; [unrolled: 3-line block ×3, first 2 shown]
	.long	2121706374                      ; 0x7e76ab86
	.long	1407967546                      ; 0x53ebe13a
	;; [unrolled: 1-line block ×4, first 2 shown]
	.long	135277096                       ; 0x8102a28
	.long	2931815032                      ; 0xaebff278
	.long	1055135881                      ; 0x3ee41889
	;; [unrolled: 1-line block ×13, first 2 shown]
	.long	382467042                       ; 0x16cbfbe2
	.long	1760129281                      ; 0x68e97101
	.long	81977310                        ; 0x4e2dfde
	.long	811187075                       ; 0x3059bb83
	.long	1385604734                      ; 0x5296a67e
	.long	2623887355                      ; 0x9c6557fb
	;; [unrolled: 1-line block ×8, first 2 shown]
	.long	337182869                       ; 0x14190095
	.long	84131191                        ; 0x503bd77
	.long	4387588                         ; 0x42f304
	.long	2641405140                      ; 0x9d70a4d4
	.long	1837403234                      ; 0x6d848c62
	.long	661876463                       ; 0x27736eef
	.long	423660319                       ; 0x19408b1f
	.long	2366546732                      ; 0x8d0ea32c
	.long	3698878607                      ; 0xdc78688f
	;; [unrolled: 1-line block ×3, first 2 shown]
	.long	309510684                       ; 0x1272c21c
	.long	3029102089                      ; 0xb48c6e09
	.long	2692507376                      ; 0xa07c66f0
	;; [unrolled: 1-line block ×3, first 2 shown]
	.long	303422295                       ; 0x1215db57
	.long	11119541                        ; 0xa9abb5
	.long	1002311379                      ; 0x3bbe0ed3
	.long	3724446882                      ; 0xddfe8ca2
	;; [unrolled: 1-line block ×6, first 2 shown]
	.long	351865836                       ; 0x14f90bec
	.long	412875013                       ; 0x189bf905
	;; [unrolled: 1-line block ×3, first 2 shown]
	.long	2818130700                      ; 0xa7f9430c
	.long	3109944987                      ; 0xb95dfe9b
	;; [unrolled: 1-line block ×5, first 2 shown]
	.long	322875622                       ; 0x133eb0e6
	.long	3834145971                      ; 0xe4886cb3
	.long	1693380373                      ; 0x64eeef15
	;; [unrolled: 1-line block ×3, first 2 shown]
	.long	901891935                       ; 0x35c1c75f
	.long	3879414752                      ; 0xe73b2be0
	.long	2226778032                      ; 0x84b9efb0
	;; [unrolled: 1-line block ×3, first 2 shown]
	.long	12199016                        ; 0xba2468
	.long	2213168758                      ; 0x83ea4676
	.long	4207259464                      ; 0xfac5af48
	.long	665553142                       ; 0x27ab88f6
	.long	2570993348                      ; 0x993e3ec4
	.long	1685535237                      ; 0x64773a05
	.long	1114492412                      ; 0x426dcdfc
	.long	553869152                       ; 0x21035f60
	.long	2855346376                      ; 0xaa3120c8
	.long	1205558328                      ; 0x47db5c38
	.long	808835317                       ; 0x3035d8f5
	.long	3266626294                      ; 0xc2b4c2f6
	.long	470585896                       ; 0x1c0c9228
	.long	2438272365                      ; 0x9155156d
	.long	4052471963                      ; 0xf18bd09b
	.long	683640040                       ; 0x28bf84e8
	.long	3581539398                      ; 0xd579f446
	.long	1588419572                      ; 0x5ead5bf4
	;; [unrolled: 1-line block ×6, first 2 shown]
	.long	363815288                       ; 0x15af6178
	.long	2171386836                      ; 0x816cbbd4
	.long	488404231                       ; 0x1d1c7507
	.long	3157371815                      ; 0xbc31aba7
	.long	2759472233                      ; 0xa47a3469
	;; [unrolled: 1-line block ×5, first 2 shown]
	.long	835026995                       ; 0x31c58033
	.long	1030654310                      ; 0x3d6e8966
	.long	4229246330                      ; 0xfc152d7a
	.long	72352110                        ; 0x450016e
	.long	3606056482                      ; 0xd6f00e22
	.long	512836002                       ; 0x1e9141a2
	.long	961858496                       ; 0x3954cbc0
	;; [unrolled: 1-line block ×3, first 2 shown]
	.long	3869483469                      ; 0xe6a3a1cd
	.long	3160187826                      ; 0xbc5ca3b2
	.long	390292489                       ; 0x17436409
	.long	2366221117                      ; 0x8d09ab3d
	.long	2966401462                      ; 0xb0cfb1b6
	;; [unrolled: 1-line block ×3, first 2 shown]
	.long	617042280                       ; 0x24c75168
	.long	3501667414                      ; 0xd0b73456
	.long	295865937                       ; 0x11a28e51
	.long	4047377762                      ; 0xf13e1562
	.long	2600411809                      ; 0x9aff22a1
	;; [unrolled: 1-line block ×3, first 2 shown]
	.long	896679896                       ; 0x35723fd8
	.long	21714884                        ; 0x14b57c4
	.long	764316452                       ; 0x2d8e8b24
	.long	356556378                       ; 0x15409e5a
	.long	4250402651                      ; 0xfd57ff5b
	.long	3990990746                      ; 0xede1af9a
	;; [unrolled: 1-line block ×3, first 2 shown]
	.long	965331966                       ; 0x3989cbfe
	.long	199003993                       ; 0xbdc8f59
	.long	3444755752                      ; 0xcd52cd28
	.long	8230450                         ; 0x7d9632
	.long	1255302023                      ; 0x4ad26387
	.long	51902971                        ; 0x317f9fb
	.long	1750733272                      ; 0x685a11d8
	.long	2842520097                      ; 0xa96d6a21
	;; [unrolled: 1-line block ×4, first 2 shown]
	.long	426039404                       ; 0x1964d86c
	.long	2113375576                      ; 0x7df78d58
	.long	1748401915                      ; 0x68367efb
	;; [unrolled: 1-line block ×5, first 2 shown]
	.long	275473920                       ; 0x106b6600
	.long	2394613217                      ; 0x8ebae5e1
	.long	2091953150                      ; 0x7cb0abfe
	;; [unrolled: 1-line block ×4, first 2 shown]
	.long	897057645                       ; 0x3578036d
	.long	488878212                       ; 0x1d23b084
	;; [unrolled: 1-line block ×3, first 2 shown]
	.long	1452317325                      ; 0x56909a8d
	.long	3939852929                      ; 0xead56281
	.long	944114068                       ; 0x38460994
	.long	2026119728                      ; 0x78c42230
	.long	115875280                       ; 0x6e81dd0
	.long	4061820350                      ; 0xf21a75be
	.long	3192643919                      ; 0xbe4be14f
	.long	989201307                       ; 0x3af6039b
	.long	2236032812                      ; 0x8547272c
	.long	1888510348                      ; 0x7090618c
	;; [unrolled: 1-line block ×8, first 2 shown]
	.long	135277096                       ; 0x8102a28
	.long	2931815032                      ; 0xaebff278
	.long	1055135881                      ; 0x3ee41889
	;; [unrolled: 1-line block ×15, first 2 shown]
	.long	81977310                        ; 0x4e2dfde
	.long	811187075                       ; 0x3059bb83
	.long	1385604734                      ; 0x5296a67e
	.long	17644628                        ; 0x10d3c54
	.long	4070531513                      ; 0xf29f61b9
	.long	2100629879                      ; 0x7d351177
	;; [unrolled: 1-line block ×6, first 2 shown]
	.long	337182869                       ; 0x14190095
	.long	84131191                        ; 0x503bd77
	.long	4387588                         ; 0x42f304
	.long	1724191700                      ; 0x66c513d4
	.long	1837403234                      ; 0x6d848c62
	.long	661876463                       ; 0x27736eef
	.long	423660319                       ; 0x19408b1f
	.long	2366546732                      ; 0x8d0ea32c
	.long	693430992                       ; 0x2954ead0
	.long	2916121190                      ; 0xadd07a66
	;; [unrolled: 2-line block ×3, first 2 shown]
	.long	2692507376                      ; 0xa07c66f0
	.long	3917396098                      ; 0xe97eb882
	.long	303422295                       ; 0x1215db57
	.long	11119541                        ; 0xa9abb5
	.long	1002311379                      ; 0x3bbe0ed3
	.long	3724446882                      ; 0xddfe8ca2
	.long	841468294                       ; 0x3227c986
	.long	2652711421                      ; 0x9e1d29fd
	.long	3486722046                      ; 0xcfd327fe
	;; [unrolled: 1-line block ×3, first 2 shown]
	.long	351865836                       ; 0x14f90bec
	.long	1733384185                      ; 0x675157f9
	.long	113149471                       ; 0x6be861f
	.long	2818130700                      ; 0xa7f9430c
	.long	3109944987                      ; 0xb95dfe9b
	;; [unrolled: 1-line block ×5, first 2 shown]
	.long	322875622                       ; 0x133eb0e6
	.long	3834145971                      ; 0xe4886cb3
	.long	1693380373                      ; 0x64eeef15
	;; [unrolled: 1-line block ×3, first 2 shown]
	.long	901891935                       ; 0x35c1c75f
	.long	3879414752                      ; 0xe73b2be0
	.long	2226778032                      ; 0x84b9efb0
	;; [unrolled: 1-line block ×6, first 2 shown]
	.long	665553142                       ; 0x27ab88f6
	.long	2570993348                      ; 0x993e3ec4
	.long	3406548636                      ; 0xcb0bce9c
	;; [unrolled: 1-line block ×3, first 2 shown]
	.long	553869152                       ; 0x21035f60
	.long	2855346376                      ; 0xaa3120c8
	.long	1205558328                      ; 0x47db5c38
	;; [unrolled: 1-line block ×17, first 2 shown]
	.long	348354997                       ; 0x14c379b5
	.long	1670276150                      ; 0x638e6436
	.long	2173074887                      ; 0x81867dc7
	.long	381736894                       ; 0x16c0d7be
	.long	3866219357                      ; 0xe671d35d
	.long	1919366695                      ; 0x72673627
	;; [unrolled: 1-line block ×10, first 2 shown]
	.long	217001062                       ; 0xcef2c66
	.long	2308928337                      ; 0x899f7351
	.long	1620415125                      ; 0x60959295
	.long	3526559172                      ; 0xd23305c4
	.long	749451561                       ; 0x2cabb929
	.long	2456947371                      ; 0x92720aab
	.long	3543607786                      ; 0xd33729ea
	.long	1893824735                      ; 0x70e178df
	;; [unrolled: 4-line block ×3, first 2 shown]
	.long	2914780639                      ; 0xadbc05df
	.long	1610287145                      ; 0x5ffb0829
	;; [unrolled: 1-line block ×4, first 2 shown]
	.long	552323208                       ; 0x20ebc888
	.long	2367242224                      ; 0x8d193ff0
	.long	3797136972                      ; 0xe253b64c
	;; [unrolled: 1-line block ×5, first 2 shown]
	.long	40445671                        ; 0x26926e7
	.long	2886682530                      ; 0xac0f47a2
	.long	2585715434                      ; 0x9a1ee2ea
	.long	194932329                       ; 0xb9e6e69
	.long	2994003812                      ; 0xb274df64
	.long	3099556382                      ; 0xb8bf7a1e
	.long	680852222                       ; 0x2894fafe
	.long	135838738                       ; 0x818bc12
	.long	1371063256                      ; 0x51b8c3d8
	.long	995454898                       ; 0x3b556fb2
	.long	3754526418                      ; 0xdfc986d2
	.long	803635682                       ; 0x2fe681e2
	.long	634588682                       ; 0x25d30e0a
	.long	3869250783                      ; 0xe6a014df
	.long	2442285521                      ; 0x919251d1
	;; [unrolled: 1-line block ×3, first 2 shown]
	.long	570621479                       ; 0x2202fe27
	.long	2512681851                      ; 0x95c47b7b
	.long	1220136924                      ; 0x48b9cfdc
	.long	750260121                       ; 0x2cb80f99
	.long	2909903038                      ; 0xad7198be
	.long	1582019728                      ; 0x5e4bb490
	;; [unrolled: 3-line block ×3, first 2 shown]
	.long	2303678604                      ; 0x894f588c
	.long	1568394164                      ; 0x5d7bcbb4
	.long	831914289                       ; 0x31960131
	.long	1971271392                      ; 0x757f36e0
	.long	1294799854                      ; 0x4d2d13ee
	;; [unrolled: 1-line block ×3, first 2 shown]
	.long	442427880                       ; 0x1a5ee9e8
	.long	1305083700                      ; 0x4dc9ff34
	.long	1211218668                      ; 0x4831baec
	;; [unrolled: 1-line block ×8, first 2 shown]
	.long	435113647                       ; 0x19ef4eaf
	.long	1591761830                      ; 0x5ee05ba6
	.long	536210039                       ; 0x1ff5ea77
	.long	2475747073                      ; 0x9390e701
	.long	4223795480                      ; 0xfbc20118
	;; [unrolled: 1-line block ×8, first 2 shown]
	.long	702659930                       ; 0x29e1bd5a
	.long	1444127970                      ; 0x5613a4e2
	.long	225340755                       ; 0xd6e6d53
	.long	2255629368                      ; 0x86722c38
	;; [unrolled: 2-line block ×3, first 2 shown]
	.long	2671132955                      ; 0x9f36411b
	.long	2080717656                      ; 0x7c053b58
	;; [unrolled: 1-line block ×4, first 2 shown]
	.long	368422910                       ; 0x15f5affe
	.long	1297685674                      ; 0x4d591caa
	.long	4076123901                      ; 0xf2f4b6fd
	.long	26214470                        ; 0x1900046
	.long	2948764826                      ; 0xafc2949a
	.long	40503299                        ; 0x26a0803
	.long	1198194334                      ; 0x476afe9e
	.long	2100063637                      ; 0x7d2c6d95
	;; [unrolled: 1-line block ×8, first 2 shown]
	.long	851437659                       ; 0x32bfe85b
	.long	240918534                       ; 0xe5c2006
	;; [unrolled: 1-line block ×3, first 2 shown]
	.long	3530600064                      ; 0xd270ae80
	.long	39695324                        ; 0x25db3dc
	.long	1753898837                      ; 0x688a5f55
	.long	1286976449                      ; 0x4cb5b3c1
	;; [unrolled: 1-line block ×7, first 2 shown]
	.long	587601940                       ; 0x23061814
	.long	1574206085                      ; 0x5dd47a85
	.long	3739575036                      ; 0xdee562fc
	;; [unrolled: 1-line block ×3, first 2 shown]
	.long	38172232                        ; 0x2467648
	.long	293127854                       ; 0x1178c6ae
	.long	4126190109                      ; 0xf5f0aa1d
	.long	1891744061                      ; 0x70c1b93d
	.long	787878666                       ; 0x2ef6130a
	.long	456643669                       ; 0x1b37d455
	.long	4228710325                      ; 0xfc0cffb5
	.long	2025132037                      ; 0x78b51005
	;; [unrolled: 1-line block ×4, first 2 shown]
	.long	969442079                       ; 0x39c8831f
	.long	3272420439                      ; 0xc30d2c57
	.long	3836126369                      ; 0xe4a6a4a1
	;; [unrolled: 1-line block ×10, first 2 shown]
	.long	476936158                       ; 0x1c6d77de
	.long	2468072723                      ; 0x931bcd13
	.long	3113105154                      ; 0xb98e3702
	;; [unrolled: 1-line block ×3, first 2 shown]
	.long	460889625                       ; 0x1b789e19
	.long	1942263502                      ; 0x73c496ce
	.long	1761593999                      ; 0x68ffca8f
	.long	3020908939                      ; 0xb40f698b
	.long	3078194866                      ; 0xb77986b2
	.long	310971889                       ; 0x12890df1
	.long	1644896012                      ; 0x620b1f0c
	.long	3756044556                      ; 0xdfe0b10c
	;; [unrolled: 1-line block ×8, first 2 shown]
	.long	950951909                       ; 0x38ae5fe5
	.long	4288936895                      ; 0xffa3fbbf
	.long	3744348848                      ; 0xdf2e3ab0
	.long	706644559                       ; 0x2a1e8a4f
	.long	1085927825                      ; 0x40b9f191
	.long	1595992020                      ; 0x5f20e7d4
	;; [unrolled: 1-line block ×18, first 2 shown]
	.long	935780030                       ; 0x37c6debe
	.long	4142412144                      ; 0xf6e83170
	.long	1263328494                      ; 0x4b4cdcee
	.long	1154237693                      ; 0x44cc44fd
	.long	2684443667                      ; 0xa0015c13
	.long	3067549398                      ; 0xb6d716d6
	.long	4253090033                      ; 0xfd8100f1
	.long	1251034970                      ; 0x4a91475a
	.long	1874233020                      ; 0x6fb686bc
	.long	3222830495                      ; 0xc0187d9f
	.long	3866931656                      ; 0xe67cb1c8
	.long	286048055                       ; 0x110cbf37
	.long	3146635362                      ; 0xbb8dd862
	.long	1436483376                      ; 0x559eff30
	;; [unrolled: 1-line block ×11, first 2 shown]
	.long	911792564                       ; 0x3658d9b4
	.long	1204178178                      ; 0x47c64d02
	.long	4127214323                      ; 0xf6004af3
	;; [unrolled: 1-line block ×4, first 2 shown]
	.long	730811902                       ; 0x2b8f4dfe
	.long	1989156224                      ; 0x76901d80
	.long	2872353003                      ; 0xab34a0eb
	.long	278290276                       ; 0x10965f64
	.long	1390223786                      ; 0x52dd21aa
	.long	2657819643                      ; 0x9e6b1bfb
	;; [unrolled: 3-line block ×3, first 2 shown]
	.long	1897013739                      ; 0x711221eb
	.long	3657020278                      ; 0xd9f9b376
	;; [unrolled: 1-line block ×5, first 2 shown]
	.long	486446521                       ; 0x1cfe95b9
	.long	3675999281                      ; 0xdb1b4c31
	.long	714737345                       ; 0x2a9a06c1
	.long	686837530                       ; 0x28f04f1a
	.long	85509025                        ; 0x518c3a1
	.long	3609089773                      ; 0xd71e56ed
	.long	2117061768                      ; 0x7e2fcc88
	;; [unrolled: 1-line block ×6, first 2 shown]
	.long	83680601                        ; 0x4fcdd59
	.long	1464326680                      ; 0x5747da18
	.long	1657693523                      ; 0x62ce6553
	;; [unrolled: 1-line block ×4, first 2 shown]
	.long	234460119                       ; 0xdf993d7
	.long	3551348221                      ; 0xd3ad45fd
	.long	2245244809                      ; 0x85d3b789
	;; [unrolled: 1-line block ×5, first 2 shown]
	.long	916790795                       ; 0x36a51e0b
	.long	245338628                       ; 0xe9f9204
	.long	2514528380                      ; 0x95e0a87c
	.long	3711787525                      ; 0xdd3d6205
	;; [unrolled: 1-line block ×15, first 2 shown]
	.long	141155464                       ; 0x869dc88
	.long	1863766055                      ; 0x6f16d027
	.long	3931110690                      ; 0xea4ffd22
	.long	191299053                       ; 0xb66fded
	.long	2019139711                      ; 0x7859a07f
	.long	2409528317                      ; 0x8f9e7bfd
	;; [unrolled: 3-line block ×3, first 2 shown]
	.long	3911939673                      ; 0xe92b7659
	.long	1197696462                      ; 0x476365ce
	;; [unrolled: 1-line block ×3, first 2 shown]
	.long	600813233                       ; 0x23cfaeb1
	.long	1535885024                      ; 0x5b8bbee0
	.long	1486280357                      ; 0x5896d6a5
	;; [unrolled: 1-line block ×8, first 2 shown]
	.long	327866771                       ; 0x138ad993
	.long	3356772175                      ; 0xc814474f
	.long	1826625240                      ; 0x6ce016d8
	;; [unrolled: 1-line block ×9, first 2 shown]
	.long	643362354                       ; 0x2658ee32
	.long	109899594                       ; 0x68cef4a
	.long	2064362635                      ; 0x7b0bac8b
	.long	3249674888                      ; 0xc1b21a88
	;; [unrolled: 1-line block ×7, first 2 shown]
	.long	476936158                       ; 0x1c6d77de
	.long	3608467942                      ; 0xd714d9e6
	.long	3113105154                      ; 0xb98e3702
	;; [unrolled: 1-line block ×3, first 2 shown]
	.long	460889625                       ; 0x1b789e19
	.long	1942263502                      ; 0x73c496ce
	.long	1862994005                      ; 0x6f0b0855
	;; [unrolled: 1-line block ×4, first 2 shown]
	.long	310971889                       ; 0x12890df1
	.long	1644896012                      ; 0x620b1f0c
	.long	693774191                       ; 0x295a276f
	.long	3549937583                      ; 0xd397bfaf
	.long	3710822994                      ; 0xdd2eaa52
	;; [unrolled: 1-line block ×4, first 2 shown]
	.long	37658897                        ; 0x23ea111
	.long	2340485150                      ; 0x8b80f81e
	.long	950951909                       ; 0x38ae5fe5
	.long	4288936895                      ; 0xffa3fbbf
	.long	3744348848                      ; 0xdf2e3ab0
	;; [unrolled: 1-line block ×21, first 2 shown]
	.long	935780030                       ; 0x37c6debe
	.long	3622052196                      ; 0xd7e42164
	.long	1263328494                      ; 0x4b4cdcee
	;; [unrolled: 1-line block ×15, first 2 shown]
	.long	979247444                       ; 0x3a5e2154
	.long	2142862852                      ; 0x7fb97e04
	.long	1368937545                      ; 0x51985449
	;; [unrolled: 1-line block ×4, first 2 shown]
	.long	294065371                       ; 0x118714db
	.long	3543274652                      ; 0xd332149c
	.long	911792564                       ; 0x3658d9b4
	.long	1204178178                      ; 0x47c64d02
	.long	4127214323                      ; 0xf6004af3
	.long	103582737                       ; 0x62c8c11
	.long	3101998294                      ; 0xb8e4bcd6
	.long	730811902                       ; 0x2b8f4dfe
	.long	1989156224                      ; 0x76901d80
	.long	2872353003                      ; 0xab34a0eb
	;; [unrolled: 1-line block ×5, first 2 shown]
	.long	552729795                       ; 0x20f1fcc3
	.long	1736270535                      ; 0x677d62c7
	.long	3325206451                      ; 0xc6329fb3
	;; [unrolled: 1-line block ×7, first 2 shown]
	.long	486446521                       ; 0x1cfe95b9
	.long	3675999281                      ; 0xdb1b4c31
	.long	714737345                       ; 0x2a9a06c1
	.long	686837530                       ; 0x28f04f1a
	.long	3946214694                      ; 0xeb367526
	.long	3609089773                      ; 0xd71e56ed
	;; [unrolled: 1-line block ×7, first 2 shown]
	.long	83680601                        ; 0x4fcdd59
	.long	1464326680                      ; 0x5747da18
	.long	1657693523                      ; 0x62ce6553
	;; [unrolled: 1-line block ×4, first 2 shown]
	.long	234460119                       ; 0xdf993d7
	.long	3551348221                      ; 0xd3ad45fd
	.long	2245244809                      ; 0x85d3b789
	;; [unrolled: 1-line block ×5, first 2 shown]
	.long	916790795                       ; 0x36a51e0b
	.long	245338628                       ; 0xe9f9204
	.long	1767303496                      ; 0x6956e948
	.long	3711787525                      ; 0xdd3d6205
	;; [unrolled: 1-line block ×15, first 2 shown]
	.long	667272562                       ; 0x27c5c572
	.long	1863766055                      ; 0x6f16d027
	.long	3931110690                      ; 0xea4ffd22
	.long	191299053                       ; 0xb66fded
	.long	2019139711                      ; 0x7859a07f
	.long	272901326                       ; 0x104424ce
	.long	739418419                       ; 0x2c12a133
	.long	1377144055                      ; 0x52158cf7
	.long	2876702705                      ; 0xab76fff1
	;; [unrolled: 1-line block ×5, first 2 shown]
	.long	600813233                       ; 0x23cfaeb1
	.long	1535885024                      ; 0x5b8bbee0
	.long	1486280357                      ; 0x5896d6a5
	;; [unrolled: 1-line block ×8, first 2 shown]
	.long	327866771                       ; 0x138ad993
	.long	3356772175                      ; 0xc814474f
	.long	1826625240                      ; 0x6ce016d8
	;; [unrolled: 1-line block ×9, first 2 shown]
	.long	643362354                       ; 0x2658ee32
	.long	109899594                       ; 0x68cef4a
	.long	2064362635                      ; 0x7b0bac8b
	.long	3249674888                      ; 0xc1b21a88
	;; [unrolled: 1-line block ×11, first 2 shown]
	.long	460889625                       ; 0x1b789e19
	.long	966040649                       ; 0x39949c49
	.long	1862994005                      ; 0x6f0b0855
	.long	3020908939                      ; 0xb40f698b
	;; [unrolled: 1-line block ×3, first 2 shown]
	.long	310971889                       ; 0x12890df1
	.long	786634113                       ; 0x2ee31581
	;; [unrolled: 1-line block ×3, first 2 shown]
	.long	3549937583                      ; 0xd397bfaf
	.long	3710822994                      ; 0xdd2eaa52
	;; [unrolled: 1-line block ×4, first 2 shown]
	.long	37658897                        ; 0x23ea111
	.long	2340485150                      ; 0x8b80f81e
	.long	950951909                       ; 0x38ae5fe5
	.long	4288936895                      ; 0xffa3fbbf
	.long	2528123823                      ; 0x96b01baf
	;; [unrolled: 1-line block ×37, first 2 shown]
	.long	979247444                       ; 0x3a5e2154
	.long	2142862852                      ; 0x7fb97e04
	.long	1368937545                      ; 0x51985449
	;; [unrolled: 1-line block ×4, first 2 shown]
	.long	294065371                       ; 0x118714db
	.long	3543274652                      ; 0xd332149c
	.long	911792564                       ; 0x3658d9b4
	.long	1204178178                      ; 0x47c64d02
	.long	3165709748                      ; 0xbcb0e5b4
	.long	103582737                       ; 0x62c8c11
	.long	3101998294                      ; 0xb8e4bcd6
	.long	730811902                       ; 0x2b8f4dfe
	;; [unrolled: 2-line block ×3, first 2 shown]
	.long	1885087777                      ; 0x705c2821
	.long	1390223786                      ; 0x52dd21aa
	;; [unrolled: 1-line block ×3, first 2 shown]
	.long	552729795                       ; 0x20f1fcc3
	.long	3388458110                      ; 0xc9f7c47e
	.long	3325206451                      ; 0xc6329fb3
	;; [unrolled: 1-line block ×7, first 2 shown]
	.long	486446521                       ; 0x1cfe95b9
	.long	3675999281                      ; 0xdb1b4c31
	.long	714737345                       ; 0x2a9a06c1
	.long	2085926890                      ; 0x7c54b7ea
	.long	3946214694                      ; 0xeb367526
	;; [unrolled: 1-line block ×5, first 2 shown]
	.long	868009118                       ; 0x33bcc49e
	.long	2916136885                      ; 0xadd0b7b5
	.long	1808988481                      ; 0x6bd2f941
	.long	83680601                        ; 0x4fcdd59
	.long	1464326680                      ; 0x5747da18
	.long	797410789                       ; 0x2f8785e5
	.long	3438751781                      ; 0xccf73025
	.long	1391154023                      ; 0x52eb5367
	.long	234460119                       ; 0xdf993d7
	.long	3551348221                      ; 0xd3ad45fd
	.long	4068940987                      ; 0xf2871cbb
	;; [unrolled: 1-line block ×5, first 2 shown]
	.long	916790795                       ; 0x36a51e0b
	.long	3722456098                      ; 0xdde02c22
	.long	1767303496                      ; 0x6956e948
	;; [unrolled: 1-line block ×16, first 2 shown]
	.long	667272562                       ; 0x27c5c572
	.long	1863766055                      ; 0x6f16d027
	.long	3931110690                      ; 0xea4ffd22
	.long	191299053                       ; 0xb66fded
	.long	1139480458                      ; 0x43eb178a
	.long	272901326                       ; 0x104424ce
	.long	739418419                       ; 0x2c12a133
	.long	1377144055                      ; 0x52158cf7
	.long	2876702705                      ; 0xab76fff1
	;; [unrolled: 1-line block ×5, first 2 shown]
	.long	600813233                       ; 0x23cfaeb1
	.long	1535885024                      ; 0x5b8bbee0
	.long	3587775605                      ; 0xd5d91c75
	;; [unrolled: 1-line block ×8, first 2 shown]
	.long	327866771                       ; 0x138ad993
	.long	3356772175                      ; 0xc814474f
	.long	1826625240                      ; 0x6ce016d8
	.long	720372669                       ; 0x2af003bd
	.long	4240407984                      ; 0xfcbf7db0
	.long	1421374867                      ; 0x54b87593
	.long	3228945021                      ; 0xc075ca7d
	.long	1358646008                      ; 0x50fb4af8
	.long	3409069246                      ; 0xcb3244be
	.long	4100357988                      ; 0xf4667f64
	.long	643362354                       ; 0x2658ee32
	.long	109899594                       ; 0x68cef4a
	.long	2064362635                      ; 0x7b0bac8b
	.long	4243434294                      ; 0xfcedab36
	;; [unrolled: 1-line block ×12, first 2 shown]
	.long	966040649                       ; 0x39949c49
	.long	1862994005                      ; 0x6f0b0855
	.long	3020908939                      ; 0xb40f698b
	;; [unrolled: 1-line block ×4, first 2 shown]
	.long	786634113                       ; 0x2ee31581
	.long	693774191                       ; 0x295a276f
	.long	3549937583                      ; 0xd397bfaf
	.long	3710822994                      ; 0xdd2eaa52
	.long	920664071                       ; 0x36e03807
	.long	1578429713                      ; 0x5e14ed11
	.long	37658897                        ; 0x23ea111
	.long	2340485150                      ; 0x8b80f81e
	.long	950951909                       ; 0x38ae5fe5
	.long	740197415                       ; 0x2c1e8427
	.long	2528123823                      ; 0x96b01baf
	.long	2258231402                      ; 0x8699e06a
	.long	1085927825                      ; 0x40b9f191
	.long	1595992020                      ; 0x5f20e7d4
	.long	2580760267                      ; 0x99d346cb
	.long	3544041088                      ; 0xd33dc680
	.long	3850509554                      ; 0xe5821cf2
	.long	3925419886                      ; 0xe9f9276e
	.long	2628739022                      ; 0x9caf5fce
	.long	3867556156                      ; 0xe686393c
	.long	2562145937                      ; 0x98b73e91
	.long	3124287811                      ; 0xba38d943
	.long	3373329273                      ; 0xc910eb79
	.long	4255542251                      ; 0xfda66beb
	.long	3185271749                      ; 0xbddb63c5
	.long	3693565710                      ; 0xdc27570e
	.long	1989726178                      ; 0x7698cfe2
	.long	1381160022                      ; 0x5252d456
	.long	3642438773                      ; 0xd91b3475
	.long	3042165367                      ; 0xb553c277
	.long	3271478204                      ; 0xc2fecbbc
	.long	3622052196                      ; 0xd7e42164
	.long	1263328494                      ; 0x4b4cdcee
	.long	1154237693                      ; 0x44cc44fd
	.long	1016814036                      ; 0x3c9b59d4
	.long	3615401444                      ; 0xd77ea5e4
	.long	2786224913                      ; 0xa6126b11
	.long	1251034970                      ; 0x4a91475a
	.long	1874233020                      ; 0x6fb686bc
	.long	2956086971                      ; 0xb0324ebb
	.long	2572413057                      ; 0x9953e881
	.long	1529490307                      ; 0x5b2a2b83
	.long	3146635362                      ; 0xbb8dd862
	.long	1436483376                      ; 0x559eff30
	.long	1513970396                      ; 0x5a3d5adc
	.long	3993894153                      ; 0xee0dfd09
	.long	979247444                       ; 0x3a5e2154
	.long	2142862852                      ; 0x7fb97e04
	.long	1368937545                      ; 0x51985449
	;; [unrolled: 1-line block ×4, first 2 shown]
	.long	294065371                       ; 0x118714db
	.long	3543274652                      ; 0xd332149c
	.long	911792564                       ; 0x3658d9b4
	.long	2209636872                      ; 0x83b46208
	.long	3165709748                      ; 0xbcb0e5b4
	.long	103582737                       ; 0x62c8c11
	.long	3101998294                      ; 0xb8e4bcd6
	.long	730811902                       ; 0x2b8f4dfe
	.long	965151434                       ; 0x39870aca
	;; [unrolled: 1-line block ×3, first 2 shown]
	.long	1885087777                      ; 0x705c2821
	.long	1390223786                      ; 0x52dd21aa
	;; [unrolled: 1-line block ×11, first 2 shown]
	.long	486446521                       ; 0x1cfe95b9
	.long	3675999281                      ; 0xdb1b4c31
	.long	620561205                       ; 0x24fd0335
	.long	2085926890                      ; 0x7c54b7ea
	.long	3946214694                      ; 0xeb367526
	;; [unrolled: 1-line block ×4, first 2 shown]
	.long	163384588                       ; 0x9bd0d0c
	.long	868009118                       ; 0x33bcc49e
	.long	2916136885                      ; 0xadd0b7b5
	.long	1808988481                      ; 0x6bd2f941
	.long	83680601                        ; 0x4fcdd59
	.long	10243015                        ; 0x9c4bc7
	.long	797410789                       ; 0x2f8785e5
	.long	3438751781                      ; 0xccf73025
	.long	1391154023                      ; 0x52eb5367
	.long	234460119                       ; 0xdf993d7
	.long	1278218413                      ; 0x4c3010ad
	.long	4068940987                      ; 0xf2871cbb
	;; [unrolled: 1-line block ×22, first 2 shown]
	.long	667272562                       ; 0x27c5c572
	.long	1863766055                      ; 0x6f16d027
	.long	3931110690                      ; 0xea4ffd22
	.long	2468422423                      ; 0x93212317
	.long	1139480458                      ; 0x43eb178a
	.long	272901326                       ; 0x104424ce
	.long	739418419                       ; 0x2c12a133
	.long	1377144055                      ; 0x52158cf7
	.long	4240143411                      ; 0xfcbb7433
	;; [unrolled: 1-line block ×5, first 2 shown]
	.long	600813233                       ; 0x23cfaeb1
	.long	3976840004                      ; 0xed09c344
	.long	3587775605                      ; 0xd5d91c75
	;; [unrolled: 1-line block ×5, first 2 shown]
	.long	437604123                       ; 0x1a154f1b
	.long	1534849280                      ; 0x5b7bf100
	.long	1215859603                      ; 0x48788b93
	.long	327866771                       ; 0x138ad993
	.long	3356772175                      ; 0xc814474f
	.long	2757237699                      ; 0xa4581bc3
	;; [unrolled: 3-line block ×3, first 2 shown]
	.long	3228945021                      ; 0xc075ca7d
	.long	3284801305                      ; 0xc3ca1719
	;; [unrolled: 1-line block ×4, first 2 shown]
	.long	643362354                       ; 0x2658ee32
	.long	109899594                       ; 0x68cef4a
	.long	1301585321                      ; 0x4d949da9
	.long	2528806870                      ; 0x96ba87d6
	;; [unrolled: 1-line block ×3, first 2 shown]
	.long	448772403                       ; 0x1abfb933
	.long	1097849740                      ; 0x416fdb8c
	.long	1899994097                      ; 0x713f9bf1
	.long	618309123                       ; 0x24daa603
	.long	1911948510                      ; 0x71f604de
	.long	2309256224                      ; 0x89a47420
	;; [unrolled: 1-line block ×3, first 2 shown]
	.long	905306403                       ; 0x35f5e123
	.long	1067595802                      ; 0x3fa2381a
	.long	36868624                        ; 0x2329210
	.long	3780886191                      ; 0xe15bbeaf
	.long	835126206                       ; 0x31c703be
	.long	3190251977                      ; 0xbe2761c9
	.long	2672497726                      ; 0x9f4b143e
	;; [unrolled: 1-line block ×5, first 2 shown]
	.long	667136329                       ; 0x27c3b149
	.long	1474890786                      ; 0x57e90c22
	.long	2383346554                      ; 0x8e0efb7a
	.long	943528949                       ; 0x383d1bf5
	.long	3376706013                      ; 0xc94471dd
	.long	2495573574                      ; 0x94bf6e46
	.long	144956345                       ; 0x8a3dbb9
	.long	793159960                       ; 0x2f46a918
	.long	1591274917                      ; 0x5ed8eda5
	.long	477107637                       ; 0x1c7015b5
	.long	1383815442                      ; 0x527b5912
	.long	67384899                        ; 0x4043643
	.long	2355242218                      ; 0x8c6224ea
	.long	1687409818                      ; 0x6493d49a
	;; [unrolled: 1-line block ×7, first 2 shown]
	.long	631067839                       ; 0x259d54bf
	.long	1187677548                      ; 0x46ca856c
	.long	2280856137                      ; 0x87f31a49
	;; [unrolled: 1-line block ×8, first 2 shown]
	.long	34670977                        ; 0x2110981
	.long	1250976509                      ; 0x4a9062fd
	.long	3484166554                      ; 0xcfac299a
	;; [unrolled: 1-line block ×3, first 2 shown]
	.long	225700994                       ; 0xd73ec82
	.long	1878713627                      ; 0x6ffae51b
	.long	2122358980                      ; 0x7e80a0c4
	;; [unrolled: 1-line block ×5, first 2 shown]
	.long	102678939                       ; 0x61ec19b
	.long	53743858                        ; 0x33410f2
	.long	2095250656                      ; 0x7ce2fce0
	.long	4023979225                      ; 0xefd90cd9
	;; [unrolled: 1-line block ×7, first 2 shown]
	.long	586320946                       ; 0x22f28c32
	.long	63813522                        ; 0x3cdb792
	.long	1238216159                      ; 0x49cdaddf
	.long	2825692263                      ; 0xa86ca467
	.long	2169937231                      ; 0x81569d4f
	.long	3298517640                      ; 0xc49b6288
	.long	1542128261                      ; 0x5beb0285
	.long	2205544184                      ; 0x8375eef8
	.long	1258655704                      ; 0x4b058fd8
	.long	2629012083                      ; 0x9cb38a73
	.long	4113650203                      ; 0xf531521b
	.long	3198617867                      ; 0xbea7090b
	.long	2742310794                      ; 0xa374578a
	.long	3372657381                      ; 0xc906aae5
	.long	3115904410                      ; 0xb9b8ed9a
	.long	1948638822                      ; 0x7425de66
	.long	1123521744                      ; 0x42f794d0
	.long	1080429281                      ; 0x40660ae1
	.long	4086706732                      ; 0xf396322c
	.long	4142693211                      ; 0xf6ec7b5b
	.long	817377147                       ; 0x30b82f7b
	.long	2570194641                      ; 0x99320ed1
	.long	26001503                        ; 0x18cc05f
	.long	2861456160                      ; 0xaa8e5b20
	.long	4185725555                      ; 0xf97d1a73
	;; [unrolled: 1-line block ×11, first 2 shown]
	.long	74119042                        ; 0x46af782
	.long	4041266437                      ; 0xf0e0d505
	.long	1938014170                      ; 0x7383bfda
	;; [unrolled: 1-line block ×9, first 2 shown]
	.long	477446533                       ; 0x1c754185
	.long	303090065                       ; 0x1210c991
	;; [unrolled: 1-line block ×3, first 2 shown]
	.long	1523238256                      ; 0x5acac570
	.long	3140505311                      ; 0xbb304edf
	;; [unrolled: 1-line block ×16, first 2 shown]
	.long	586759229                       ; 0x22f93c3d
	.long	3548750902                      ; 0xd385a436
	.long	1449857891                      ; 0x566b1363
	;; [unrolled: 1-line block ×4, first 2 shown]
	.long	57294602                        ; 0x36a3f0a
	.long	4107991297                      ; 0xf4daf901
	.long	1214672265                      ; 0x48666d89
	;; [unrolled: 1-line block ×5, first 2 shown]
	.long	737207923                       ; 0x2bf0e673
	.long	4264163846                      ; 0xfe29fa06
	.long	59219141                        ; 0x3879cc5
	.long	2300024654                      ; 0x8917974e
	.long	1876616814                      ; 0x6fdae66e
	;; [unrolled: 1-line block ×3, first 2 shown]
	.long	783571061                       ; 0x2eb45875
	.long	1724699622                      ; 0x66ccd3e6
	.long	1967524469                      ; 0x75460a75
	;; [unrolled: 1-line block ×5, first 2 shown]
	.long	273342162                       ; 0x104aded2
	.long	1156754241                      ; 0x44f2ab41
	.long	185315896                       ; 0xb0bb238
	.long	3368133921                      ; 0xc8c1a521
	.long	66314655                        ; 0x3f3e19f
	.long	4153777915                      ; 0xf7959efb
	.long	3519901897                      ; 0xd1cd70c9
	;; [unrolled: 1-line block ×3, first 2 shown]
	.long	68684525                        ; 0x4180aed
	.long	1738833632                      ; 0x67a47ee0
	.long	3081329135                      ; 0xb7a959ef
	;; [unrolled: 1-line block ×4, first 2 shown]
	.long	503032614                       ; 0x1dfbab26
	.long	3658059597                      ; 0xda098f4d
	.long	571493931                       ; 0x22104e2b
	.long	685537959                       ; 0x28dc7aa7
	.long	3498787788                      ; 0xd08b43cc
	.long	422428426                       ; 0x192dbf0a
	.long	3879256913                      ; 0xe738c351
	.long	1173158320                      ; 0x45ecf9b0
	;; [unrolled: 1-line block ×3, first 2 shown]
	.long	298972869                       ; 0x11d1f6c5
	.long	1718342816                      ; 0x666bd4a0
	.long	2541691685                      ; 0x977f2325
	;; [unrolled: 1-line block ×12, first 2 shown]
	.long	760765206                       ; 0x2d585b16
	.long	2293618001                      ; 0x88b5d551
	.long	1392353032                      ; 0x52fd9f08
	;; [unrolled: 1-line block ×6, first 2 shown]
	.long	451078217                       ; 0x1ae2e849
	.long	2591688848                      ; 0x9a7a0890
	.long	12635611                        ; 0xc0cddb
	.long	507045428                       ; 0x1e38e634
	.long	694822241                       ; 0x296a2561
	.long	1789383090                      ; 0x6aa7d1b2
	.long	1140183890                      ; 0x43f5d352
	;; [unrolled: 1-line block ×12, first 2 shown]
	.long	914271617                       ; 0x367ead81
	.long	483007580                       ; 0x1cca1c5c
	.long	2127727816                      ; 0x7ed28cc8
	.long	2754998083                      ; 0xa435ef43
	;; [unrolled: 1-line block ×3, first 2 shown]
	.long	598442002                       ; 0x23ab8012
	.long	1950227301                      ; 0x743e1b65
	.long	213053613                       ; 0xcb2f0ad
	.long	3566888111                      ; 0xd49a64af
	.long	2832258993                      ; 0xa8d0d7b1
	;; [unrolled: 1-line block ×3, first 2 shown]
	.long	443662829                       ; 0x1a71c1ed
	.long	1706542890                      ; 0x65b7c72a
	.long	3852730296                      ; 0xe5a3ffb8
	;; [unrolled: 1-line block ×5, first 2 shown]
	.long	171529637                       ; 0xa3955a5
	.long	215187467                       ; 0xcd3800b
	.long	2369406909                      ; 0x8d3a47bd
	.long	1929000706                      ; 0x72fa3702
	;; [unrolled: 1-line block ×4, first 2 shown]
	.long	810692262                       ; 0x30522ea6
	.long	1337974799                      ; 0x4fbfe00f
	.long	4030350704                      ; 0xf03a4570
	;; [unrolled: 1-line block ×5, first 2 shown]
	.long	593628480                       ; 0x23620d40
	.long	1817383139                      ; 0x6c5310e3
	.long	878832429                       ; 0x3461eb2d
	.long	2253876350                      ; 0x86576c7e
	;; [unrolled: 2-line block ×3, first 2 shown]
	.long	3407143936                      ; 0xcb14e400
	.long	1912362251                      ; 0x71fc550b
	;; [unrolled: 1-line block ×4, first 2 shown]
	.long	305467658                       ; 0x1235110a
	.long	3292706746                      ; 0xc442b7ba
	.long	44135525                        ; 0x2a17465
	.long	4001933553                      ; 0xee88a8f1
	.long	3697343089                      ; 0xdc60fa71
	.long	760470915                       ; 0x2d53dd83
	.long	587414402                       ; 0x23033b82
	.long	1419378814                      ; 0x549a007e
	.long	2852774010                      ; 0xaa09e07a
	;; [unrolled: 1-line block ×8, first 2 shown]
	.long	36229159                        ; 0x228d027
	.long	1591415533                      ; 0x5edb12ed
	.long	3471572739                      ; 0xceebff03
	.long	1237952140                      ; 0x49c9a68c
	.long	2614469314                      ; 0x9bd5a2c2
	.long	213338525                       ; 0xcb7499d
	.long	886212578                       ; 0x34d287e2
	.long	2620301943                      ; 0x9c2ea277
	.long	713590207                       ; 0x2a8885bf
	.long	2430496777                      ; 0x90de7009
	.long	1198164420                      ; 0x476a89c4
	;; [unrolled: 1-line block ×4, first 2 shown]
	.long	36283572                        ; 0x229a4b4
	.long	1461695896                      ; 0x571fb598
	.long	1770331341                      ; 0x69851ccd
	;; [unrolled: 1-line block ×8, first 2 shown]
	.long	668308383                       ; 0x27d5939f
	.long	388340999                       ; 0x17259d07
	.long	3221275220                      ; 0xc000c254
	.long	1589659138                      ; 0x5ec04602
	.long	294382235                       ; 0x118bea9b
	.long	1447443579                      ; 0x56463c7b
	.long	690177534                       ; 0x292345fe
	.long	1799726917                      ; 0x6b45a745
	.long	2838977761                      ; 0xa9375ce1
	;; [unrolled: 1-line block ×4, first 2 shown]
	.long	159385920                       ; 0x9800940
	.long	2248389027                      ; 0x8603b1a3
	.long	1790015671                      ; 0x6ab178b7
	;; [unrolled: 1-line block ×10, first 2 shown]
	.long	747724021                       ; 0x2c915cf5
	.long	4037561738                      ; 0xf0a84d8a
	.long	1605940213                      ; 0x5fb8b3f5
	.long	445253292                       ; 0x1a8a06ac
	.long	3362434828                      ; 0xc86aaf0c
	.long	610898209                       ; 0x24699121
	;; [unrolled: 2-line block ×3, first 2 shown]
	.long	1540599852                      ; 0x5bd3b02c
	.long	2449351720                      ; 0x91fe2428
	;; [unrolled: 1-line block ×4, first 2 shown]
	.long	68684525                        ; 0x4180aed
	.long	1738833632                      ; 0x67a47ee0
	.long	3081329135                      ; 0xb7a959ef
	.long	519684794                       ; 0x1ef9c2ba
	.long	2291130512                      ; 0x888fe090
	.long	503032614                       ; 0x1dfbab26
	;; [unrolled: 2-line block ×3, first 2 shown]
	.long	2400186105                      ; 0x8f0feef9
	.long	3498787788                      ; 0xd08b43cc
	.long	422428426                       ; 0x192dbf0a
	.long	3879256913                      ; 0xe738c351
	.long	1173158320                      ; 0x45ecf9b0
	;; [unrolled: 1-line block ×3, first 2 shown]
	.long	298972869                       ; 0x11d1f6c5
	.long	1718342816                      ; 0x666bd4a0
	.long	2541691685                      ; 0x977f2325
	;; [unrolled: 1-line block ×8, first 2 shown]
	.long	642431972                       ; 0x264abbe4
	.long	2621896355                      ; 0x9c46f6a3
	.long	2572404999                      ; 0x9953c907
	;; [unrolled: 1-line block ×3, first 2 shown]
	.long	760765206                       ; 0x2d585b16
	.long	2949609717                      ; 0xafcf78f5
	.long	1392353032                      ; 0x52fd9f08
	.long	1733137169                      ; 0x674d9311
	.long	2674005018                      ; 0x9f62141a
	.long	4067961151                      ; 0xf278293f
	.long	1526077846                      ; 0x5af61996
	.long	451078217                       ; 0x1ae2e849
	.long	2591688848                      ; 0x9a7a0890
	.long	12635611                        ; 0xc0cddb
	.long	507045428                       ; 0x1e38e634
	.long	2417951415                      ; 0x901f02b7
	.long	1789383090                      ; 0x6aa7d1b2
	;; [unrolled: 1-line block ×13, first 2 shown]
	.long	914271617                       ; 0x367ead81
	.long	483007580                       ; 0x1cca1c5c
	;; [unrolled: 1-line block ×3, first 2 shown]
	.long	2754998083                      ; 0xa435ef43
	.long	3179053982                      ; 0xbd7c839e
	.long	598442002                       ; 0x23ab8012
	.long	1950227301                      ; 0x743e1b65
	.long	2473418737                      ; 0x936d5ff1
	;; [unrolled: 1-line block ×5, first 2 shown]
	.long	443662829                       ; 0x1a71c1ed
	.long	2097776414                      ; 0x7d09871e
	.long	3852730296                      ; 0xe5a3ffb8
	;; [unrolled: 1-line block ×6, first 2 shown]
	.long	215187467                       ; 0xcd3800b
	.long	2369406909                      ; 0x8d3a47bd
	.long	1929000706                      ; 0x72fa3702
	;; [unrolled: 1-line block ×4, first 2 shown]
	.long	810692262                       ; 0x30522ea6
	.long	1337974799                      ; 0x4fbfe00f
	.long	4030350704                      ; 0xf03a4570
	;; [unrolled: 1-line block ×5, first 2 shown]
	.long	593628480                       ; 0x23620d40
	.long	1817383139                      ; 0x6c5310e3
	.long	878832429                       ; 0x3461eb2d
	.long	361018423                       ; 0x1584b437
	;; [unrolled: 1-line block ×3, first 2 shown]
	.long	2102950440                      ; 0x7d587a28
	.long	3407143936                      ; 0xcb14e400
	;; [unrolled: 1-line block ×5, first 2 shown]
	.long	305467658                       ; 0x1235110a
	.long	3292706746                      ; 0xc442b7ba
	.long	44135525                        ; 0x2a17465
	.long	1900092336                      ; 0x71411bb0
	.long	3697343089                      ; 0xdc60fa71
	.long	760470915                       ; 0x2d53dd83
	.long	587414402                       ; 0x23033b82
	.long	1419378814                      ; 0x549a007e
	.long	343303227                       ; 0x1476643b
	.long	3891626781                      ; 0xe7f5831d
	.long	2757016765                      ; 0xa454bcbd
	;; [unrolled: 1-line block ×4, first 2 shown]
	.long	745490961                       ; 0x2c6f4a11
	.long	2855539022                      ; 0xaa34114e
	.long	36229159                        ; 0x228d027
	.long	1591415533                      ; 0x5edb12ed
	.long	3471572739                      ; 0xceebff03
	;; [unrolled: 1-line block ×4, first 2 shown]
	.long	213338525                       ; 0xcb7499d
	.long	886212578                       ; 0x34d287e2
	.long	2620301943                      ; 0x9c2ea277
	.long	827771411                       ; 0x3156ca13
	.long	2430496777                      ; 0x90de7009
	.long	1198164420                      ; 0x476a89c4
	.long	2644841698                      ; 0x9da514e2
	.long	3654164701                      ; 0xd9ce20dd
	.long	2747674190                      ; 0xa3c62e4e
	.long	1461695896                      ; 0x571fb598
	.long	1770331341                      ; 0x69851ccd
	.long	1641501876                      ; 0x61d754b4
	.long	3470919184                      ; 0xcee20610
	.long	919857376                       ; 0x36d3e8e0
	.long	3053795110                      ; 0xb6053726
	.long	3533531372                      ; 0xd29d68ec
	;; [unrolled: 1-line block ×3, first 2 shown]
	.long	668308383                       ; 0x27d5939f
	.long	201138876                       ; 0xbfd22bc
	.long	3221275220                      ; 0xc000c254
	.long	1589659138                      ; 0x5ec04602
	.long	294382235                       ; 0x118bea9b
	.long	1447443579                      ; 0x56463c7b
	.long	4211579707                      ; 0xfb079b3b
	;; [unrolled: 1-line block ×6, first 2 shown]
	.long	416103844                       ; 0x18cd3da4
	.long	2248389027                      ; 0x8603b1a3
	.long	1790015671                      ; 0x6ab178b7
	;; [unrolled: 1-line block ×9, first 2 shown]
	.long	564854400                       ; 0x21aafe80
	.long	747724021                       ; 0x2c915cf5
	.long	4037561738                      ; 0xf0a84d8a
	.long	1605940213                      ; 0x5fb8b3f5
	.long	445253292                       ; 0x1a8a06ac
	.long	604900912                       ; 0x240e0e30
	;; [unrolled: 1-line block ×3, first 2 shown]
	.long	1473244091                      ; 0x57cfebbb
	.long	735444769                       ; 0x2bd5ff21
	.long	1540599852                      ; 0x5bd3b02c
	.long	3036173307                      ; 0xb4f853fb
	.long	1032410949                      ; 0x3d895745
	.long	3672467167                      ; 0xdae566df
	.long	68684525                        ; 0x4180aed
	.long	1738833632                      ; 0x67a47ee0
	.long	973022696                       ; 0x39ff25e8
	.long	519684794                       ; 0x1ef9c2ba
	.long	2291130512                      ; 0x888fe090
	.long	503032614                       ; 0x1dfbab26
	.long	3658059597                      ; 0xda098f4d
	.long	1500301452                      ; 0x596cc88c
	;; [unrolled: 1-line block ×4, first 2 shown]
	.long	422428426                       ; 0x192dbf0a
	.long	3879256913                      ; 0xe738c351
	.long	3923611748                      ; 0xe9dd9064
	;; [unrolled: 1-line block ×3, first 2 shown]
	.long	298972869                       ; 0x11d1f6c5
	.long	1718342816                      ; 0x666bd4a0
	.long	2541691685                      ; 0x977f2325
	;; [unrolled: 1-line block ×8, first 2 shown]
	.long	642431972                       ; 0x264abbe4
	.long	2621896355                      ; 0x9c46f6a3
	.long	2572404999                      ; 0x9953c907
	;; [unrolled: 1-line block ×10, first 2 shown]
	.long	451078217                       ; 0x1ae2e849
	.long	2591688848                      ; 0x9a7a0890
	.long	12635611                        ; 0xc0cddb
	.long	3971261781                      ; 0xecb4a555
	.long	2417951415                      ; 0x901f02b7
	;; [unrolled: 1-line block ×10, first 2 shown]
	.long	915518921                       ; 0x3691b5c9
	.long	3079297626                      ; 0xb78a5a5a
	.long	1793223686                      ; 0x6ae26c06
	;; [unrolled: 1-line block ×3, first 2 shown]
	.long	914271617                       ; 0x367ead81
	.long	791633499                       ; 0x2f2f5e5b
	;; [unrolled: 1-line block ×3, first 2 shown]
	.long	2754998083                      ; 0xa435ef43
	.long	3179053982                      ; 0xbd7c839e
	.long	598442002                       ; 0x23ab8012
	.long	324402573                       ; 0x1355fd8d
	.long	2473418737                      ; 0x936d5ff1
	.long	3566888111                      ; 0xd49a64af
	;; [unrolled: 1-line block ×11, first 2 shown]
	.long	215187467                       ; 0xcd3800b
	.long	2369406909                      ; 0x8d3a47bd
	.long	1929000706                      ; 0x72fa3702
	.long	657446369                       ; 0x272fd5e1
	.long	3779486126                      ; 0xe14661ae
	.long	810692262                       ; 0x30522ea6
	.long	1337974799                      ; 0x4fbfe00f
	.long	4030350704                      ; 0xf03a4570
	;; [unrolled: 1-line block ×5, first 2 shown]
	.long	593628480                       ; 0x23620d40
	.long	1817383139                      ; 0x6c5310e3
	.long	3414354529                      ; 0xcb82ea61
	.long	361018423                       ; 0x1584b437
	.long	203612980                       ; 0xc22e334
	.long	2102950440                      ; 0x7d587a28
	.long	3407143936                      ; 0xcb14e400
	;; [unrolled: 1-line block ×5, first 2 shown]
	.long	305467658                       ; 0x1235110a
	.long	3292706746                      ; 0xc442b7ba
	.long	825045562                       ; 0x312d323a
	.long	1900092336                      ; 0x71411bb0
	.long	3697343089                      ; 0xdc60fa71
	.long	760470915                       ; 0x2d53dd83
	.long	587414402                       ; 0x23033b82
	.long	2000637694                      ; 0x773f4efe
	.long	343303227                       ; 0x1476643b
	.long	3891626781                      ; 0xe7f5831d
	.long	2757016765                      ; 0xa454bcbd
	;; [unrolled: 1-line block ×4, first 2 shown]
	.long	745490961                       ; 0x2c6f4a11
	.long	2855539022                      ; 0xaa34114e
	.long	36229159                        ; 0x228d027
	.long	1591415533                      ; 0x5edb12ed
	.long	2208656873                      ; 0x83a56de9
	;; [unrolled: 1-line block ×4, first 2 shown]
	.long	213338525                       ; 0xcb7499d
	.long	886212578                       ; 0x34d287e2
	.long	2729976209                      ; 0xa2b82191
	.long	827771411                       ; 0x3156ca13
	.long	2430496777                      ; 0x90de7009
	.long	1198164420                      ; 0x476a89c4
	.long	2644841698                      ; 0x9da514e2
	.long	1922667440                      ; 0x729993b0
	.long	2747674190                      ; 0xa3c62e4e
	.long	1461695896                      ; 0x571fb598
	.long	1770331341                      ; 0x69851ccd
	.long	1641501876                      ; 0x61d754b4
	.long	357535311                       ; 0x154f8e4f
	.long	919857376                       ; 0x36d3e8e0
	.long	3053795110                      ; 0xb6053726
	.long	3533531372                      ; 0xd29d68ec
	;; [unrolled: 1-line block ×4, first 2 shown]
	.long	201138876                       ; 0xbfd22bc
	.long	3221275220                      ; 0xc000c254
	.long	1589659138                      ; 0x5ec04602
	.long	294382235                       ; 0x118bea9b
	.long	1148950143                      ; 0x447b967f
	.long	4211579707                      ; 0xfb079b3b
	.long	1799726917                      ; 0x6b45a745
	.long	2838977761                      ; 0xa9375ce1
	.long	4172949119                      ; 0xf8ba267f
	.long	892664404                       ; 0x3534fa54
	.long	416103844                       ; 0x18cd3da4
	.long	2248389027                      ; 0x8603b1a3
	.long	1790015671                      ; 0x6ab178b7
	;; [unrolled: 1-line block ×9, first 2 shown]
	.long	564854400                       ; 0x21aafe80
	.long	747724021                       ; 0x2c915cf5
	.long	4037561738                      ; 0xf0a84d8a
	.long	1605940213                      ; 0x5fb8b3f5
	;; [unrolled: 1-line block ×3, first 2 shown]
	.long	604900912                       ; 0x240e0e30
	.long	610898209                       ; 0x24699121
	.long	1473244091                      ; 0x57cfebbb
	.long	735444769                       ; 0x2bd5ff21
	.long	3571225334                      ; 0xd4dc92f6
	.long	3036173307                      ; 0xb4f853fb
	;; [unrolled: 1-line block ×4, first 2 shown]
	.long	68684525                        ; 0x4180aed
	.long	3327351604                      ; 0xc6535b34
	.long	973022696                       ; 0x39ff25e8
	.long	519684794                       ; 0x1ef9c2ba
	.long	2291130512                      ; 0x888fe090
	.long	503032614                       ; 0x1dfbab26
	.long	3814902238                      ; 0xe362c9de
	.long	1500301452                      ; 0x596cc88c
	;; [unrolled: 1-line block ×4, first 2 shown]
	.long	422428426                       ; 0x192dbf0a
	.long	1756753750                      ; 0x68b5ef56
	.long	3923611748                      ; 0xe9dd9064
	;; [unrolled: 1-line block ×3, first 2 shown]
	.long	298972869                       ; 0x11d1f6c5
	.long	1718342816                      ; 0x666bd4a0
	.long	652903081                       ; 0x26ea82a9
	.long	2323881484                      ; 0x8a839e0c
	.long	1686027891                      ; 0x647ebe73
	;; [unrolled: 1-line block ×6, first 2 shown]
	.long	642431972                       ; 0x264abbe4
	.long	2621896355                      ; 0x9c46f6a3
	.long	2572404999                      ; 0x9953c907
	;; [unrolled: 1-line block ×10, first 2 shown]
	.long	451078217                       ; 0x1ae2e849
	.long	2591688848                      ; 0x9a7a0890
	.long	3353622601                      ; 0xc7e43849
	.long	3971261781                      ; 0xecb4a555
	.long	2417951415                      ; 0x901f02b7
	.long	1789383090                      ; 0x6aa7d1b2
	.long	1140183890                      ; 0x43f5d352
	.long	4113853791                      ; 0xf5346d5f
	.long	2906966040                      ; 0xad44c818
	.long	3465605863                      ; 0xce90f2e7
	.long	2793804971                      ; 0xa68614ab
	.long	1054433135                      ; 0x3ed95f6f
	.long	2195882948                      ; 0x82e283c4
	.long	915518921                       ; 0x3691b5c9
	.long	3079297626                      ; 0xb78a5a5a
	.long	1793223686                      ; 0x6ae26c06
	;; [unrolled: 1-line block ×3, first 2 shown]
	.long	898713552                       ; 0x359147d0
	.long	791633499                       ; 0x2f2f5e5b
	;; [unrolled: 1-line block ×3, first 2 shown]
	.long	2754998083                      ; 0xa435ef43
	.long	3179053982                      ; 0xbd7c839e
	;; [unrolled: 1-line block ×3, first 2 shown]
	.long	324402573                       ; 0x1355fd8d
	.long	2473418737                      ; 0x936d5ff1
	.long	3566888111                      ; 0xd49a64af
	;; [unrolled: 1-line block ×11, first 2 shown]
	.long	215187467                       ; 0xcd3800b
	.long	2369406909                      ; 0x8d3a47bd
	.long	4243449339                      ; 0xfcede5fb
	.long	657446369                       ; 0x272fd5e1
	.long	3779486126                      ; 0xe14661ae
	.long	810692262                       ; 0x30522ea6
	.long	1337974799                      ; 0x4fbfe00f
	.long	3960230785                      ; 0xec0c5381
	;; [unrolled: 1-line block ×5, first 2 shown]
	.long	593628480                       ; 0x23620d40
	.long	732793312                       ; 0x2bad89e0
	.long	3414354529                      ; 0xcb82ea61
	.long	361018423                       ; 0x1584b437
	.long	203612980                       ; 0xc22e334
	.long	2102950440                      ; 0x7d587a28
	.long	2401792405                      ; 0x8f287195
	;; [unrolled: 1-line block ×5, first 2 shown]
	.long	305467658                       ; 0x1235110a
	.long	2454275289                      ; 0x924944d9
	.long	825045562                       ; 0x312d323a
	.long	1900092336                      ; 0x71411bb0
	.long	3697343089                      ; 0xdc60fa71
	.long	760470915                       ; 0x2d53dd83
	.long	2146882409                      ; 0x7ff6d369
	;; [unrolled: 3-line block ×3, first 2 shown]
	.long	2757016765                      ; 0xa454bcbd
	.long	3997473261                      ; 0xee4499ed
	;; [unrolled: 1-line block ×3, first 2 shown]
	.long	745490961                       ; 0x2c6f4a11
	.long	2855539022                      ; 0xaa34114e
	.long	36229159                        ; 0x228d027
	.long	2375394427                      ; 0x8d95a47b
	.long	2208656873                      ; 0x83a56de9
	;; [unrolled: 1-line block ×4, first 2 shown]
	.long	213338525                       ; 0xcb7499d
	.long	2055366274                      ; 0x7a826682
	.long	2729976209                      ; 0xa2b82191
	.long	827771411                       ; 0x3156ca13
	.long	2430496777                      ; 0x90de7009
	.long	1198164420                      ; 0x476a89c4
	;; [unrolled: 1-line block ×8, first 2 shown]
	.long	357535311                       ; 0x154f8e4f
	.long	919857376                       ; 0x36d3e8e0
	.long	3053795110                      ; 0xb6053726
	.long	3533531372                      ; 0xd29d68ec
	;; [unrolled: 1-line block ×4, first 2 shown]
	.long	201138876                       ; 0xbfd22bc
	.long	3221275220                      ; 0xc000c254
	.long	1589659138                      ; 0x5ec04602
	;; [unrolled: 1-line block ×8, first 2 shown]
	.long	892664404                       ; 0x3534fa54
	.long	416103844                       ; 0x18cd3da4
	.long	2248389027                      ; 0x8603b1a3
	.long	1790015671                      ; 0x6ab178b7
	.long	3936883                         ; 0x3c1273
	.long	2612357890                      ; 0x9bb56b02
	.long	3481887924                      ; 0xcf8964b4
	;; [unrolled: 1-line block ×6, first 2 shown]
	.long	564854400                       ; 0x21aafe80
	.long	747724021                       ; 0x2c915cf5
	.long	4037561738                      ; 0xf0a84d8a
	.long	3431155922                      ; 0xcc8348d2
	;; [unrolled: 1-line block ×3, first 2 shown]
	.long	604900912                       ; 0x240e0e30
	.long	610898209                       ; 0x24699121
	.long	1473244091                      ; 0x57cfebbb
	.long	3880001339                      ; 0xe7441f3b
	;; [unrolled: 1-line block ×12, first 2 shown]
	.long	372705521                       ; 0x163708f1
	.long	1359389771                      ; 0x5106a44b
	.long	1590302979                      ; 0x5eca1903
	;; [unrolled: 1-line block ×6, first 2 shown]
	.long	716997849                       ; 0x2abc84d9
	.long	3235607043                      ; 0xc0db7203
	.long	2550297745                      ; 0x98027491
	.long	3688700200                      ; 0xdbdd1928
	.long	354502605                       ; 0x152147cd
	.long	2285793656                      ; 0x883e7178
	.long	2339138034                      ; 0x8b6c69f2
	;; [unrolled: 1-line block ×4, first 2 shown]
	.long	469322622                       ; 0x1bf94b7e
	.long	1319943359                      ; 0x4eacbcbf
	.long	1916101235                      ; 0x72356273
	.long	200441823                       ; 0xbf27fdf
	.long	509436982                       ; 0x1e5d6436
	.long	2160284593                      ; 0x80c353b1
	.long	1687919695                      ; 0x649b9c4f
	.long	4153615582                      ; 0xf79324de
	.long	495735041                       ; 0x1d8c5101
	.long	3694469424                      ; 0xdc352130
	.long	2086893117                      ; 0x7c63763d
	.long	4223008799                      ; 0xfbb6001f
	;; [unrolled: 4-line block ×3, first 2 shown]
	.long	4176151950                      ; 0xf8eb058e
	.long	415739351                       ; 0x18c7add7
	.long	817762972                       ; 0x30be129c
	.long	3768072560                      ; 0xe0983970
	.long	1931430949                      ; 0x731f4c25
	.long	2698979439                      ; 0xa0df286f
	.long	3481477932                      ; 0xcf83232c
	.long	1994322914                      ; 0x76def3e2
	.long	4078299950                      ; 0xf315eb2e
	.long	1268233995                      ; 0x4b97b70b
	.long	3254069145                      ; 0xc1f52799
	.long	91029129                        ; 0x56cfe89
	.long	498234704                       ; 0x1db27550
	.long	1636613942                      ; 0x618cbf36
	.long	3710087092                      ; 0xdd236fb4
	.long	3876816560                      ; 0xe71386b0
	.long	3510446387                      ; 0xd13d2933
	.long	3870169008                      ; 0xe6ae17b0
	.long	1370156410                      ; 0x51aaed7a
	.long	2442498047                      ; 0x91958fff
	.long	2324396523                      ; 0x8a8b79eb
	.long	1258730334                      ; 0x4b06b35e
	.long	621954739                       ; 0x251246b3
	.long	1053015373                      ; 0x3ec3bd4d
	.long	491820717                       ; 0x1d5096ad
	.long	3386515432                      ; 0xc9da1fe8
	.long	2203703266                      ; 0x8359d7e2
	.long	120167176                       ; 0x7299b08
	.long	2383669740                      ; 0x8e13e9ec
	.long	1038666440                      ; 0x3de8cac8
	;; [unrolled: 1-line block ×6, first 2 shown]
	.long	679052891                       ; 0x2879865b
	.long	2451259584                      ; 0x921b40c0
	.long	2177706146                      ; 0x81cd28a2
	.long	606842882                       ; 0x242bb002
	.long	3546980104                      ; 0xd36a9f08
	.long	2289281509                      ; 0x8873a9e5
	.long	353873434                       ; 0x1517ae1a
	.long	2041926837                      ; 0x79b554b5
	.long	1238346748                      ; 0x49cfabfc
	.long	2729109726                      ; 0xa2aae8de
	.long	2843938395                      ; 0xa9830e5b
	;; [unrolled: 1-line block ×5, first 2 shown]
	.long	693378319                       ; 0x29541d0f
	.long	2020963566                      ; 0x787574ee
	.long	2000385949                      ; 0x773b779d
	;; [unrolled: 1-line block ×3, first 2 shown]
	.long	650307220                       ; 0x26c2e694
	.long	2631327075                      ; 0x9cd6dd63
	.long	1529128757                      ; 0x5b24a735
	.long	595871428                       ; 0x238446c4
	.long	3206666562                      ; 0xbf21d942
	.long	458062987                       ; 0x1b4d7c8b
	.long	875238192                       ; 0x342b1330
	.long	3729317374                      ; 0xde48ddfe
	.long	1368843921                      ; 0x5196e691
	;; [unrolled: 1-line block ×5, first 2 shown]
	.long	321359326                       ; 0x13278dde
	.long	994274524                       ; 0x3b436cdc
	.long	361184397                       ; 0x15873c8d
	.long	4285497594                      ; 0xff6f80fa
	.long	915263578                       ; 0x368dd05a
	.long	1486882838                      ; 0x58a00816
	.long	9988613                         ; 0x986a05
	.long	829077170                       ; 0x316ab6b2
	.long	677216046                       ; 0x285d7f2e
	.long	4141828204                      ; 0xf6df486c
	.long	165804609                       ; 0x9e1fa41
	.long	1086678519                      ; 0x40c565f7
	.long	2933434608                      ; 0xaed8a8f0
	;; [unrolled: 1-line block ×9, first 2 shown]
	.long	67873555                        ; 0x40bab13
	.long	2230337823                      ; 0x84f0411f
	.long	1263800417                      ; 0x4b541061
	;; [unrolled: 1-line block ×17, first 2 shown]
	.long	765557661                       ; 0x2da17b9d
	.long	765290990                       ; 0x2d9d69ee
	.long	3056075500                      ; 0xb62802ec
	.long	2040620632                      ; 0x79a16658
	.long	422573751                       ; 0x192ff6b7
	.long	3613558930                      ; 0xd7628892
	.long	1741145769                      ; 0x67c7c6a9
	.long	273531216                       ; 0x104dc150
	.long	837238736                       ; 0x31e73fd0
	.long	494297893                       ; 0x1d766325
	.long	2903251124                      ; 0xad0c18b4
	.long	1636782182                      ; 0x618f5066
	;; [unrolled: 1-line block ×6, first 2 shown]
	.long	270297201                       ; 0x101c6871
	.long	2970166904                      ; 0xb1092678
	.long	3151626326                      ; 0xbbda0056
	.long	973127447                       ; 0x3a00bf17
	.long	1523852613                      ; 0x5ad42545
	.long	598650578                       ; 0x23aeaed2
	.long	10289043                        ; 0x9cff93
	.long	1138773500                      ; 0x43e04dfc
	.long	1379558769                      ; 0x523a6571
	;; [unrolled: 1-line block ×4, first 2 shown]
	.long	181345079                       ; 0xacf1b37
	.long	228706650                       ; 0xda1c95a
	.long	2807760507                      ; 0xa75b067b
	.long	3061024281                      ; 0xb6738619
	;; [unrolled: 1-line block ×9, first 2 shown]
	.long	977540509                       ; 0x3a44159d
	.long	870449791                       ; 0x33e2027f
	.long	1484134272                      ; 0x58761780
	.long	2838962253                      ; 0xa937204d
	;; [unrolled: 1-line block ×5, first 2 shown]
	.long	994295425                       ; 0x3b43be81
	.long	1302594555                      ; 0x4da403fb
	.long	277777192                       ; 0x108e8b28
	.long	1793039043                      ; 0x6adf9ac3
	.long	1620482692                      ; 0x60969a84
	.long	2518563014                      ; 0x961e38c6
	.long	1163760339                      ; 0x455d92d3
	.long	2709515777                      ; 0xa17fee01
	.long	4220588138                      ; 0xfb91106a
	.long	531143270                       ; 0x1fa89a66
	.long	2528377633                      ; 0x96b3fb21
	.long	931694828                       ; 0x378888ec
	.long	1472659070                      ; 0x57c6fe7e
	;; [unrolled: 2-line block ×3, first 2 shown]
	.long	3849822545                      ; 0xe577a151
	.long	1304182427                      ; 0x4dbc3e9b
	;; [unrolled: 1-line block ×3, first 2 shown]
	.long	587259647                       ; 0x2300deff
	.long	296795227                       ; 0x11b0bc5b
	.long	3843393378                      ; 0xe5158762
	.long	100570026                       ; 0x5fe93aa
	.long	1824916038                      ; 0x6cc60246
	.long	3155192628                      ; 0xbc106b34
	;; [unrolled: 1-line block ×12, first 2 shown]
	.long	629407548                       ; 0x2583ff3c
	.long	3209244941                      ; 0xbf49310d
	.long	2102270358                      ; 0x7d4e1996
	.long	952701496                       ; 0x38c91238
	.long	2715374730                      ; 0xa1d9548a
	.long	2142960491                      ; 0x7fbafb6b
	;; [unrolled: 1-line block ×5, first 2 shown]
	.long	367516884                       ; 0x15e7dcd4
	.long	211986877                       ; 0xca2a9bd
	.long	3970312395                      ; 0xeca628cb
	.long	4153651951                      ; 0xf793b2ef
	.long	3794120671                      ; 0xe225afdf
	.long	614826776                       ; 0x24a58318
	.long	769672874                       ; 0x2de046aa
	.long	2218713182                      ; 0x843ee05e
	.long	236114529                       ; 0xe12d261
	.long	1614697510                      ; 0x603e5426
	.long	2420862368                      ; 0x904b6da0
	;; [unrolled: 1-line block ×11, first 2 shown]
	.long	765232390                       ; 0x2d9c8506
	.long	1406483345                      ; 0x53d53b91
	.long	2796499268                      ; 0xa6af3144
	;; [unrolled: 1-line block ×7, first 2 shown]
	.long	973530327                       ; 0x3a06e4d7
	.long	2545412294                      ; 0x97b7e8c6
	.long	1841110931                      ; 0x6dbd1f93
	;; [unrolled: 1-line block ×12, first 2 shown]
	.long	818092118                       ; 0x30c31856
	.long	3182607992                      ; 0xbdb2be78
	.long	1658516909                      ; 0x62daf5ad
	;; [unrolled: 1-line block ×4, first 2 shown]
	.long	799857247                       ; 0x2facda5f
	.long	2492902195                      ; 0x9496ab33
	.long	168866110                       ; 0xa10b13e
	.long	2251316716                      ; 0x86305dec
	.long	1607684829                      ; 0x5fd352dd
	;; [unrolled: 1-line block ×11, first 2 shown]
	.long	205015857                       ; 0xc384b31
	.long	1936033273                      ; 0x736585f9
	.long	3955997259                      ; 0xebcbba4b
	.long	821264237                       ; 0x30f37f6d
	.long	1882720491                      ; 0x703808eb
	.long	159294165                       ; 0x97ea2d5
	.long	3197657094                      ; 0xbe986006
	.long	528058988                       ; 0x1f798a6c
	.long	2768830342                      ; 0xa508ff86
	.long	805087358                       ; 0x2ffca87e
	.long	896645931                       ; 0x3571bb2b
	.long	1360375456                      ; 0x5115aea0
	.long	3417488932                      ; 0xcbb2be24
	;; [unrolled: 1-line block ×4, first 2 shown]
	.long	983658874                       ; 0x3aa1717a
	.long	1828706965                      ; 0x6cffda95
	.long	875027318                       ; 0x3427db76
	.long	1310362653                      ; 0x4e1a8c1d
	.long	3711487613                      ; 0xdd38ce7d
	;; [unrolled: 1-line block ×4, first 2 shown]
	.long	485182003                       ; 0x1ceb4a33
	.long	2633647498                      ; 0x9cfa458a
	.long	1369395018                      ; 0x519f4f4a
	;; [unrolled: 1-line block ×4, first 2 shown]
	.long	270658892                       ; 0x1021ed4c
	.long	2657510202                      ; 0x9e66633a
	.long	270297201                       ; 0x101c6871
	.long	2970166904                      ; 0xb1092678
	.long	3151626326                      ; 0xbbda0056
	.long	499420828                       ; 0x1dc48e9c
	.long	1523852613                      ; 0x5ad42545
	.long	598650578                       ; 0x23aeaed2
	.long	10289043                        ; 0x9cff93
	.long	1138773500                      ; 0x43e04dfc
	.long	640170086                       ; 0x26283866
	.long	2202575480                      ; 0x8348a278
	.long	1622690708                      ; 0x60b84b94
	.long	181345079                       ; 0xacf1b37
	.long	228706650                       ; 0xda1c95a
	.long	3957853780                      ; 0xebe80e54
	.long	3061024281                      ; 0xb6738619
	;; [unrolled: 1-line block ×9, first 2 shown]
	.long	977540509                       ; 0x3a44159d
	.long	2346891936                      ; 0x8be2baa0
	.long	1484134272                      ; 0x58761780
	;; [unrolled: 1-line block ×6, first 2 shown]
	.long	994295425                       ; 0x3b43be81
	.long	1302594555                      ; 0x4da403fb
	.long	277777192                       ; 0x108e8b28
	.long	1793039043                      ; 0x6adf9ac3
	;; [unrolled: 2-line block ×3, first 2 shown]
	.long	1163760339                      ; 0x455d92d3
	.long	2709515777                      ; 0xa17fee01
	;; [unrolled: 1-line block ×5, first 2 shown]
	.long	931694828                       ; 0x378888ec
	.long	1472659070                      ; 0x57c6fe7e
	.long	900489303                       ; 0x35ac6057
	.long	32461040                        ; 0x1ef50f0
	.long	3849822545                      ; 0xe577a151
	.long	1304182427                      ; 0x4dbc3e9b
	;; [unrolled: 1-line block ×3, first 2 shown]
	.long	587259647                       ; 0x2300deff
	.long	3728056788                      ; 0xde35a1d4
	.long	3843393378                      ; 0xe5158762
	.long	100570026                       ; 0x5fe93aa
	.long	1824916038                      ; 0x6cc60246
	.long	3155192628                      ; 0xbc106b34
	;; [unrolled: 1-line block ×15, first 2 shown]
	.long	952701496                       ; 0x38c91238
	.long	2715374730                      ; 0xa1d9548a
	.long	826676012                       ; 0x3146132c
	.long	2566649458                      ; 0x98fbf672
	.long	2386659994                      ; 0x8e418a9a
	;; [unrolled: 1-line block ×3, first 2 shown]
	.long	367516884                       ; 0x15e7dcd4
	.long	4272143576                      ; 0xfea3bcd8
	.long	3970312395                      ; 0xeca628cb
	.long	4153651951                      ; 0xf793b2ef
	.long	3794120671                      ; 0xe225afdf
	.long	614826776                       ; 0x24a58318
	.long	4106382849                      ; 0xf4c26e01
	.long	2218713182                      ; 0x843ee05e
	.long	236114529                       ; 0xe12d261
	.long	1614697510                      ; 0x603e5426
	.long	2420862368                      ; 0x904b6da0
	;; [unrolled: 3-line block ×3, first 2 shown]
	.long	3585194114                      ; 0xd5b1b882
	.long	1394678495                      ; 0x53211adf
	;; [unrolled: 1-line block ×6, first 2 shown]
	.long	765232390                       ; 0x2d9c8506
	.long	2247301699                      ; 0x85f31a43
	.long	2796499268                      ; 0xa6af3144
	;; [unrolled: 1-line block ×7, first 2 shown]
	.long	973530327                       ; 0x3a06e4d7
	.long	2545412294                      ; 0x97b7e8c6
	.long	1841110931                      ; 0x6dbd1f93
	;; [unrolled: 1-line block ×17, first 2 shown]
	.long	524065102                       ; 0x1f3c994e
	.long	2492902195                      ; 0x9496ab33
	.long	168866110                       ; 0xa10b13e
	.long	2251316716                      ; 0x86305dec
	.long	1607684829                      ; 0x5fd352dd
	.long	877205873                       ; 0x34491971
	.long	2382781983                      ; 0x8e065e1f
	.long	3298500129                      ; 0xc49b1e21
	;; [unrolled: 1-line block ×8, first 2 shown]
	.long	205015857                       ; 0xc384b31
	.long	3578808491                      ; 0xd55048ab
	.long	3955997259                      ; 0xebcbba4b
	.long	821264237                       ; 0x30f37f6d
	.long	1882720491                      ; 0x703808eb
	.long	159294165                       ; 0x97ea2d5
	;; [unrolled: 2-line block ×4, first 2 shown]
	.long	896645931                       ; 0x3571bb2b
	.long	2309781073                      ; 0x89ac7651
	.long	3417488932                      ; 0xcbb2be24
	;; [unrolled: 1-line block ×4, first 2 shown]
	.long	983658874                       ; 0x3aa1717a
	.long	3756437847                      ; 0xdfe6b157
	.long	875027318                       ; 0x3427db76
	.long	1310362653                      ; 0x4e1a8c1d
	.long	3711487613                      ; 0xdd38ce7d
	;; [unrolled: 1-line block ×4, first 2 shown]
	.long	485182003                       ; 0x1ceb4a33
	.long	2633647498                      ; 0x9cfa458a
	.long	1369395018                      ; 0x519f4f4a
	;; [unrolled: 1-line block ×3, first 2 shown]
	.long	184614728                       ; 0xb00ff48
	.long	270658892                       ; 0x1021ed4c
	.long	2657510202                      ; 0x9e66633a
	.long	270297201                       ; 0x101c6871
	.long	2970166904                      ; 0xb1092678
	.long	884907665                       ; 0x34be9e91
	.long	499420828                       ; 0x1dc48e9c
	.long	1523852613                      ; 0x5ad42545
	.long	598650578                       ; 0x23aeaed2
	.long	10289043                        ; 0x9cff93
	.long	2023902217                      ; 0x78a24c09
	.long	640170086                       ; 0x26283866
	.long	2202575480                      ; 0x8348a278
	.long	1622690708                      ; 0x60b84b94
	.long	181345079                       ; 0xacf1b37
	.long	1358722197                      ; 0x50fc7495
	.long	3957853780                      ; 0xebe80e54
	;; [unrolled: 1-line block ×15, first 2 shown]
	.long	663361761                       ; 0x278a18e1
	.long	2112540708                      ; 0x7dead024
	.long	994295425                       ; 0x3b43be81
	.long	1302594555                      ; 0x4da403fb
	;; [unrolled: 2-line block ×4, first 2 shown]
	.long	1163760339                      ; 0x455d92d3
	.long	2709515777                      ; 0xa17fee01
	;; [unrolled: 1-line block ×5, first 2 shown]
	.long	931694828                       ; 0x378888ec
	.long	1472659070                      ; 0x57c6fe7e
	.long	3170286187                      ; 0xbcf6ba6b
	.long	32461040                        ; 0x1ef50f0
	.long	3849822545                      ; 0xe577a151
	.long	1304182427                      ; 0x4dbc3e9b
	;; [unrolled: 1-line block ×3, first 2 shown]
	.long	166213287                       ; 0x9e836a7
	.long	3728056788                      ; 0xde35a1d4
	.long	3843393378                      ; 0xe5158762
	.long	100570026                       ; 0x5fe93aa
	.long	1824916038                      ; 0x6cc60246
	.long	1534589402                      ; 0x5b77f9da
	;; [unrolled: 1-line block ×6, first 2 shown]
	.long	767439709                       ; 0x2dbe335d
	.long	2944318376                      ; 0xaf7ebba8
	.long	2443465671                      ; 0x91a453c7
	.long	3007665864                      ; 0xb34556c8
	.long	3350433156                      ; 0xc7b38d84
	.long	257274072                       ; 0xf55b0d8
	.long	1413669939                      ; 0x5442e433
	.long	3209244941                      ; 0xbf49310d
	;; [unrolled: 1-line block ×3, first 2 shown]
	.long	952701496                       ; 0x38c91238
	.long	893224047                       ; 0x353d846f
	.long	826676012                       ; 0x3146132c
	.long	2566649458                      ; 0x98fbf672
	.long	2386659994                      ; 0x8e418a9a
	;; [unrolled: 1-line block ×11, first 2 shown]
	.long	236114529                       ; 0xe12d261
	.long	1614697510                      ; 0x603e5426
	.long	2427291612                      ; 0x90ad87dc
	.long	138091237                       ; 0x83b1ae5
	.long	3080341429                      ; 0xb79a47b5
	.long	2394724619                      ; 0x8ebc990b
	;; [unrolled: 1-line block ×16, first 2 shown]
	.long	973530327                       ; 0x3a06e4d7
	.long	2545412294                      ; 0x97b7e8c6
	.long	655938239                       ; 0x2718d2bf
	.long	3427639042                      ; 0xcc4d9f02
	.long	1104865218                      ; 0x41dae7c2
	;; [unrolled: 1-line block ×4, first 2 shown]
	.long	748629647                       ; 0x2c9f2e8f
	.long	2159805028                      ; 0x80bc0264
	.long	2613642581                      ; 0x9bc90555
	;; [unrolled: 1-line block ×10, first 2 shown]
	.long	524065102                       ; 0x1f3c994e
	.long	2492902195                      ; 0x9496ab33
	.long	168866110                       ; 0xa10b13e
	.long	2251316716                      ; 0x86305dec
	.long	229376275                       ; 0xdac0113
	.long	877205873                       ; 0x34491971
	.long	2382781983                      ; 0x8e065e1f
	.long	3298500129                      ; 0xc49b1e21
	;; [unrolled: 1-line block ×11, first 2 shown]
	.long	821264237                       ; 0x30f37f6d
	.long	1882720491                      ; 0x703808eb
	.long	2211365699                      ; 0x83cec343
	;; [unrolled: 1-line block ×3, first 2 shown]
	.long	528058988                       ; 0x1f798a6c
	.long	2768830342                      ; 0xa508ff86
	.long	805087358                       ; 0x2ffca87e
	.long	1351870678                      ; 0x5093e8d6
	.long	2309781073                      ; 0x89ac7651
	;; [unrolled: 1-line block ×7, first 2 shown]
	.long	875027318                       ; 0x3427db76
	.long	1310362653                      ; 0x4e1a8c1d
	.long	3711487613                      ; 0xdd38ce7d
	;; [unrolled: 1-line block ×4, first 2 shown]
	.long	485182003                       ; 0x1ceb4a33
	.long	2633647498                      ; 0x9cfa458a
	.long	1369395018                      ; 0x519f4f4a
	;; [unrolled: 1-line block ×3, first 2 shown]
	.long	184614728                       ; 0xb00ff48
	.long	270658892                       ; 0x1021ed4c
	.long	2657510202                      ; 0x9e66633a
	.long	270297201                       ; 0x101c6871
	.long	3337954073                      ; 0xc6f52319
	.long	884907665                       ; 0x34be9e91
	.long	499420828                       ; 0x1dc48e9c
	.long	1523852613                      ; 0x5ad42545
	.long	598650578                       ; 0x23aeaed2
	.long	3874207188                      ; 0xe6ebb5d4
	.long	2023902217                      ; 0x78a24c09
	.long	640170086                       ; 0x26283866
	.long	2202575480                      ; 0x8348a278
	.long	1622690708                      ; 0x60b84b94
	;; [unrolled: 1-line block ×7, first 2 shown]
	.long	753738868                       ; 0x2ced2474
	.long	4156960892                      ; 0xf7c6307c
	.long	2049506087                      ; 0x7a28fb27
	;; [unrolled: 1-line block ×10, first 2 shown]
	.long	663361761                       ; 0x278a18e1
	.long	2112540708                      ; 0x7dead024
	.long	994295425                       ; 0x3b43be81
	.long	1302594555                      ; 0x4da403fb
	.long	1941500850                      ; 0x73b8f3b2
	;; [unrolled: 1-line block ×3, first 2 shown]
	.long	981072592                       ; 0x3a79fad0
	.long	2518563014                      ; 0x961e38c6
	.long	1163760339                      ; 0x455d92d3
	.long	184357645                       ; 0xafd130d
	.long	3301905324                      ; 0xc4cf13ac
	.long	1992965594                      ; 0x76ca3dda
	.long	2528377633                      ; 0x96b3fb21
	.long	931694828                       ; 0x378888ec
	.long	3462653134                      ; 0xce63e4ce
	.long	3170286187                      ; 0xbcf6ba6b
	.long	32461040                        ; 0x1ef50f0
	.long	3849822545                      ; 0xe577a151
	.long	1304182427                      ; 0x4dbc3e9b
	.long	396808784                       ; 0x17a6d250
	.long	166213287                       ; 0x9e836a7
	.long	3728056788                      ; 0xde35a1d4
	.long	3843393378                      ; 0xe5158762
	.long	100570026                       ; 0x5fe93aa
	.long	876691173                       ; 0x34413ee5
	.long	1534589402                      ; 0x5b77f9da
	.long	1194916233                      ; 0x4738f989
	;; [unrolled: 1-line block ×5, first 2 shown]
	.long	767439709                       ; 0x2dbe335d
	.long	2944318376                      ; 0xaf7ebba8
	.long	2443465671                      ; 0x91a453c7
	;; [unrolled: 1-line block ×4, first 2 shown]
	.long	257274072                       ; 0xf55b0d8
	.long	1413669939                      ; 0x5442e433
	.long	3209244941                      ; 0xbf49310d
	.long	2102270358                      ; 0x7d4e1996
	.long	2792966616                      ; 0xa67949d8
	.long	893224047                       ; 0x353d846f
	.long	826676012                       ; 0x3146132c
	.long	2566649458                      ; 0x98fbf672
	.long	2386659994                      ; 0x8e418a9a
	.long	798757973                       ; 0x2f9c1455
	.long	1336000731                      ; 0x4fa1c0db
	.long	4272143576                      ; 0xfea3bcd8
	;; [unrolled: 1-line block ×8, first 2 shown]
	.long	236114529                       ; 0xe12d261
	.long	1936008889                      ; 0x736526b9
	.long	2427291612                      ; 0x90ad87dc
	.long	138091237                       ; 0x83b1ae5
	.long	3080341429                      ; 0xb79a47b5
	.long	2394724619                      ; 0x8ebc990b
	;; [unrolled: 1-line block ×16, first 2 shown]
	.long	973530327                       ; 0x3a06e4d7
	.long	484392041                       ; 0x1cdf3c69
	;; [unrolled: 1-line block ×3, first 2 shown]
	.long	3427639042                      ; 0xcc4d9f02
	.long	1104865218                      ; 0x41dae7c2
	;; [unrolled: 1-line block ×4, first 2 shown]
	.long	748629647                       ; 0x2c9f2e8f
	.long	2159805028                      ; 0x80bc0264
	.long	2613642581                      ; 0x9bc90555
	;; [unrolled: 1-line block ×10, first 2 shown]
	.long	524065102                       ; 0x1f3c994e
	.long	2492902195                      ; 0x9496ab33
	.long	168866110                       ; 0xa10b13e
	.long	4106973392                      ; 0xf4cb70d0
	.long	229376275                       ; 0xdac0113
	.long	877205873                       ; 0x34491971
	.long	2382781983                      ; 0x8e065e1f
	.long	3298500129                      ; 0xc49b1e21
	;; [unrolled: 1-line block ×11, first 2 shown]
	.long	821264237                       ; 0x30f37f6d
	.long	1581729952                      ; 0x5e4748a0
	.long	2211365699                      ; 0x83cec343
	;; [unrolled: 1-line block ×3, first 2 shown]
	.long	528058988                       ; 0x1f798a6c
	.long	2768830342                      ; 0xa508ff86
	.long	3946263978                      ; 0xeb3735aa
	;; [unrolled: 1-line block ×9, first 2 shown]
	.long	875027318                       ; 0x3427db76
	.long	1310362653                      ; 0x4e1a8c1d
	.long	3439391360                      ; 0xcd00f280
	;; [unrolled: 1-line block ×4, first 2 shown]
	.long	485182003                       ; 0x1ceb4a33
	.long	2633647498                      ; 0x9cfa458a
	.long	3576868480                      ; 0xd532ae80
	;; [unrolled: 1-line block ×7, first 2 shown]
	.long	665011257                       ; 0x27a34439
	.long	40118275                        ; 0x2642803
	.long	3584569179                      ; 0xd5a82f5b
	.long	3399729283                      ; 0xcaa3c083
	.long	3867174947                      ; 0xe6806823
	.long	658488234                       ; 0x273fbbaa
	.long	1099195903                      ; 0x418465ff
	.long	2274511402                      ; 0x87924a2a
	;; [unrolled: 1-line block ×6, first 2 shown]
	.long	449442630                       ; 0x1ac9f346
	.long	164837956                       ; 0x9d33a44
	.long	1010805767                      ; 0x3c3fac07
	.long	605336924                       ; 0x2414b55c
	.long	1178031445                      ; 0x46375555
	.long	3949359502                      ; 0xeb66718e
	;; [unrolled: 1-line block ×3, first 2 shown]
	.long	611885521                       ; 0x2478a1d1
	.long	293204651                       ; 0x1179f2ab
	.long	3389557188                      ; 0xca0889c4
	.long	1172294301                      ; 0x45dfca9d
	;; [unrolled: 1-line block ×3, first 2 shown]
	.long	659842653                       ; 0x2754665d
	.long	504992348                       ; 0x1e19925c
	.long	3762165683                      ; 0xe03e17b3
	.long	1799777932                      ; 0x6b466e8c
	;; [unrolled: 1-line block ×5, first 2 shown]
	.long	115233249                       ; 0x6de51e1
	.long	2775142171                      ; 0xa5694f1b
	.long	3228632586                      ; 0xc071060a
	.long	885407023                       ; 0x34c63d2f
	.long	2514866293                      ; 0x95e5d075
	.long	3615088636                      ; 0xd779dffc
	;; [unrolled: 1-line block ×6, first 2 shown]
	.long	70646265                        ; 0x435f9f9
	.long	2291458600                      ; 0x8894e228
	.long	2370783730                      ; 0x8d4f49f2
	;; [unrolled: 1-line block ×7, first 2 shown]
	.long	989185345                       ; 0x3af5c541
	.long	3343822313                      ; 0xc74eade9
	.long	2580472874                      ; 0x99cee42a
	;; [unrolled: 1-line block ×6, first 2 shown]
	.long	904631114                       ; 0x35eb934a
	.long	2654790756                      ; 0x9e3ce464
	.long	2967911632                      ; 0xb0e6bcd0
	;; [unrolled: 1-line block ×8, first 2 shown]
	.long	651625138                       ; 0x26d702b2
	.long	2159175883                      ; 0x80b268cb
	.long	4062995539                      ; 0xf22c6453
	.long	696224922                       ; 0x297f8c9a
	.long	3388626509                      ; 0xc9fa564d
	.long	100118553                       ; 0x5f7b019
	.long	770731124                       ; 0x2df06c74
	.long	2149458689                      ; 0x801e2301
	.long	3223175313                      ; 0xc01dc091
	;; [unrolled: 1-line block ×4, first 2 shown]
	.long	78236806                        ; 0x4a9cc86
	.long	3212708723                      ; 0xbf7e0b73
	.long	1045780878                      ; 0x3e55598e
	;; [unrolled: 1-line block ×4, first 2 shown]
	.long	966829465                       ; 0x39a0a599
	.long	61269250                        ; 0x3a6e502
	.long	405063245                       ; 0x1824c64d
	.long	331731998                       ; 0x13c5d41e
	.long	2472078870                      ; 0x9358ee16
	.long	1138237364                      ; 0x43d81fb4
	;; [unrolled: 1-line block ×10, first 2 shown]
	.long	391930524                       ; 0x175c629c
	.long	1326819828                      ; 0x4f15a9f4
	.long	85308067                        ; 0x515b2a3
	.long	3235336831                      ; 0xc0d7527f
	.long	686989692                       ; 0x28f2a17c
	.long	1947564282                      ; 0x741578fa
	.long	842881662                       ; 0x323d5a7e
	.long	2887279866                      ; 0xac1864fa
	.long	3850666935                      ; 0xe58483b7
	;; [unrolled: 1-line block ×7, first 2 shown]
	.long	26094213                        ; 0x18e2a85
	.long	1184502058                      ; 0x469a112a
	.long	2048598709                      ; 0x7a1b22b5
	;; [unrolled: 1-line block ×6, first 2 shown]
	.long	170896272                       ; 0xa2fab90
	.long	444231850                       ; 0x1a7a70aa
	.long	1500204748                      ; 0x596b4ecc
	.long	1077470703                      ; 0x4038e5ef
	;; [unrolled: 1-line block ×4, first 2 shown]
	.long	138805391                       ; 0x846008f
	.long	1636536505                      ; 0x618b90b9
	.long	3118018426                      ; 0xb9d92f7a
	;; [unrolled: 1-line block ×6, first 2 shown]
	.long	468876399                       ; 0x1bf27c6f
	.long	1407419455                      ; 0x53e3843f
	.long	3226137264                      ; 0xc04af2b0
	.long	414206328                       ; 0x18b04978
	.long	1011039713                      ; 0x3c433de1
	.long	3537947031                      ; 0xd2e0c997
	;; [unrolled: 1-line block ×3, first 2 shown]
	.long	258556532                       ; 0xf694274
	.long	3615987029                      ; 0xd7879555
	.long	3372097337                      ; 0xc8fe1f39
	;; [unrolled: 1-line block ×6, first 2 shown]
	.long	746156045                       ; 0x2c79700d
	.long	4203877603                      ; 0xfa9214e3
	.long	297851145                       ; 0x11c0d909
	.long	2615507398                      ; 0x9be579c6
	.long	1141098641                      ; 0x4403c891
	;; [unrolled: 1-line block ×5, first 2 shown]
	.long	229307235                       ; 0xdaaf363
	.long	3476606674                      ; 0xcf38ced2
	.long	3553854689                      ; 0xd3d384e1
	;; [unrolled: 1-line block ×16, first 2 shown]
	.long	22588497                        ; 0x158ac51
	.long	2211317602                      ; 0x83ce0762
	.long	616238454                       ; 0x24bb0d76
	.long	2394270012                      ; 0x8eb5a93c
	.long	3212896041                      ; 0xbf80e729
	.long	213408768                       ; 0xcb85c00
	.long	2199328374                      ; 0x83171676
	;; [unrolled: 3-line block ×3, first 2 shown]
	.long	3150758902                      ; 0xbbccc3f6
	.long	2022548260                      ; 0x788da324
	;; [unrolled: 1-line block ×5, first 2 shown]
	.long	483288372                       ; 0x1cce6534
	.long	450033142                       ; 0x1ad2f5f6
	;; [unrolled: 1-line block ×3, first 2 shown]
	.long	2224873625                      ; 0x849ce099
	.long	241543410                       ; 0xe65a8f2
	.long	312552314                       ; 0x12a12b7a
	.long	1268067149                      ; 0x4b952b4d
	.long	915918620                       ; 0x3697cf1c
	.long	3906238422                      ; 0xe8d477d6
	;; [unrolled: 2-line block ×3, first 2 shown]
	.long	2414090506                      ; 0x8fe4190a
	.long	3798383292                      ; 0xe266babc
	;; [unrolled: 1-line block ×3, first 2 shown]
	.long	130309284                       ; 0x7c45ca4
	.long	1158673651                      ; 0x450ff4f3
	.long	152325583                       ; 0x9144dcf
	.long	3499865580                      ; 0xd09bb5ec
	.long	4094273597                      ; 0xf409a83d
	;; [unrolled: 1-line block ×3, first 2 shown]
	.long	93538481                        ; 0x59348b1
	.long	3963199522                      ; 0xec39a022
	.long	4215066819                      ; 0xfb3cd0c3
	;; [unrolled: 1-line block ×3, first 2 shown]
	.long	950351173                       ; 0x38a53545
	.long	2758084052                      ; 0xa46505d4
	.long	3408506640                      ; 0xcb29af10
	;; [unrolled: 1-line block ×7, first 2 shown]
	.long	252381865                       ; 0xf0b0aa9
	.long	409397320                       ; 0x1866e848
	;; [unrolled: 1-line block ×3, first 2 shown]
	.long	1936712854                      ; 0x736fe496
	.long	1198684021                      ; 0x47727775
	.long	922916691                       ; 0x37029753
	.long	10413506                        ; 0x9ee5c2
	.long	3546896248                      ; 0xd3695778
	.long	1704703870                      ; 0x659bb77e
	;; [unrolled: 1-line block ×3, first 2 shown]
	.long	104399432                       ; 0x6390248
	.long	4144557684                      ; 0xf708ee74
	.long	68239720                        ; 0x4114168
	.long	2666028745                      ; 0x9ee85ec9
	.long	362625839                       ; 0x159d3b2f
	.long	2591539911                      ; 0x9a77c2c7
	.long	2837165752                      ; 0xa91bb6b8
	.long	2180226515                      ; 0x81f39dd3
	.long	4076543943                      ; 0xf2fb1fc7
	.long	2956460273                      ; 0xb03800f1
	.long	312410753                       ; 0x129f0281
	.long	2566731139                      ; 0x98fd3583
	.long	2532653524                      ; 0x96f539d4
	;; [unrolled: 1-line block ×3, first 2 shown]
	.long	207904356                       ; 0xc645e64
	.long	354574195                       ; 0x15225f73
	;; [unrolled: 1-line block ×3, first 2 shown]
	.long	3816686234                      ; 0xe37e029a
	.long	3016971115                      ; 0xb3d3536b
	;; [unrolled: 1-line block ×4, first 2 shown]
	.long	33493163                        ; 0x1ff10ab
	.long	780255811                       ; 0x2e81c243
	.long	4092242980                      ; 0xf3eaac24
	.long	4121521600                      ; 0xf5a96dc0
	.long	2119254314                      ; 0x7e51412a
	.long	42767673                        ; 0x28c9539
	.long	1081488778                      ; 0x4076358a
	.long	2757446871                      ; 0xa45b4cd7
	;; [unrolled: 1-line block ×8, first 2 shown]
	.long	299194858                       ; 0x11d559ea
	.long	537384087                       ; 0x2007d497
	.long	1695155491                      ; 0x650a0523
	.long	2078250102                      ; 0x7bdf9476
	;; [unrolled: 1-line block ×12, first 2 shown]
	.long	867809161                       ; 0x33b9b789
	.long	2167953720                      ; 0x81385938
	.long	2290558548                      ; 0x88872654
	.long	417635396                       ; 0x18e49c44
	.long	53496289                        ; 0x33049e1
	.long	1890906570                      ; 0x70b4f1ca
	.long	2842247580                      ; 0xa969419c
	.long	807266805                       ; 0x301de9f5
	.long	1226139132                      ; 0x491565fc
	.long	2067929784                      ; 0x7b421ab8
	;; [unrolled: 1-line block ×8, first 2 shown]
	.long	215385887                       ; 0xcd6871f
	.long	845421530                       ; 0x32641bda
	.long	1350380353                      ; 0x507d2b41
	.long	4209181096                      ; 0xfae301a8
	;; [unrolled: 1-line block ×7, first 2 shown]
	.long	71403197                        ; 0x44186bd
	.long	219220133                       ; 0xd1108a5
	.long	2181111477                      ; 0x82011eb5
	.long	2000396844                      ; 0x773ba22c
	;; [unrolled: 1-line block ×9, first 2 shown]
	.long	992324522                       ; 0x3b25abaa
	.long	3056113148                      ; 0xb62895fc
	.long	3473635768                      ; 0xcf0b79b8
	;; [unrolled: 1-line block ×20, first 2 shown]
	.long	616238454                       ; 0x24bb0d76
	.long	2394270012                      ; 0x8eb5a93c
	.long	3212896041                      ; 0xbf80e729
	.long	732700649                       ; 0x2bac1fe9
	.long	2199328374                      ; 0x83171676
	.long	3188624050                      ; 0xbe0e8ab2
	.long	811443809                       ; 0x305da661
	.long	2818548979                      ; 0xa7ffa4f3
	.long	972036137                       ; 0x39f01829
	.long	2022548260                      ; 0x788da324
	.long	2462701924                      ; 0x92c9d964
	;; [unrolled: 1-line block ×5, first 2 shown]
	.long	450033142                       ; 0x1ad2f5f6
	.long	772942770                       ; 0x2e122bb2
	.long	2224873625                      ; 0x849ce099
	.long	241543410                       ; 0xe65a8f2
	.long	1907109304                      ; 0x71ac2db8
	.long	1268067149                      ; 0x4b952b4d
	.long	915918620                       ; 0x3697cf1c
	.long	3906238422                      ; 0xe8d477d6
	.long	132545832                       ; 0x7e67d28
	.long	301668366                       ; 0x11fb180e
	.long	2414090506                      ; 0x8fe4190a
	.long	3798383292                      ; 0xe266babc
	;; [unrolled: 1-line block ×3, first 2 shown]
	.long	130309284                       ; 0x7c45ca4
	.long	1228520287                      ; 0x4939bb5f
	.long	152325583                       ; 0x9144dcf
	.long	3499865580                      ; 0xd09bb5ec
	.long	4094273597                      ; 0xf409a83d
	;; [unrolled: 1-line block ×7, first 2 shown]
	.long	950351173                       ; 0x38a53545
	.long	47361585                        ; 0x2d2ae31
	.long	3408506640                      ; 0xcb29af10
	.long	2468905351                      ; 0x93288187
	.long	3982226741                      ; 0xed5bf535
	.long	3591899344                      ; 0xd61808d0
	.long	1878226915                      ; 0x6ff377e3
	.long	3321078070                      ; 0xc5f3a136
	.long	252381865                       ; 0xf0b0aa9
	.long	409397320                       ; 0x1866e848
	;; [unrolled: 1-line block ×3, first 2 shown]
	.long	1716437506                      ; 0x664ec202
	.long	1198684021                      ; 0x47727775
	.long	922916691                       ; 0x37029753
	.long	10413506                        ; 0x9ee5c2
	.long	3546896248                      ; 0xd3695778
	.long	1591998796                      ; 0x5ee3f94c
	.long	1479762464                      ; 0x58336220
	.long	104399432                       ; 0x6390248
	.long	4144557684                      ; 0xf708ee74
	.long	68239720                        ; 0x4114168
	.long	3810955599                      ; 0xe326914f
	.long	362625839                       ; 0x159d3b2f
	.long	2591539911                      ; 0x9a77c2c7
	.long	2837165752                      ; 0xa91bb6b8
	;; [unrolled: 1-line block ×5, first 2 shown]
	.long	312410753                       ; 0x129f0281
	.long	2566731139                      ; 0x98fd3583
	.long	2532653524                      ; 0x96f539d4
	.long	687490649                       ; 0x28fa4659
	.long	207904356                       ; 0xc645e64
	.long	354574195                       ; 0x15225f73
	.long	485696336                       ; 0x1cf32350
	.long	3816686234                      ; 0xe37e029a
	.long	378445403                       ; 0x168e9e5b
	.long	4272692603                      ; 0xfeac1d7b
	.long	2352732136                      ; 0x8c3bd7e8
	.long	33493163                        ; 0x1ff10ab
	.long	780255811                       ; 0x2e81c243
	.long	1303281526                      ; 0x4dae7f76
	.long	4121521600                      ; 0xf5a96dc0
	.long	2119254314                      ; 0x7e51412a
	.long	42767673                        ; 0x28c9539
	.long	1081488778                      ; 0x4076358a
	.long	1734311274                      ; 0x675f7d6a
	;; [unrolled: 1-line block ×8, first 2 shown]
	.long	299194858                       ; 0x11d559ea
	.long	537384087                       ; 0x2007d497
	.long	1695155491                      ; 0x650a0523
	.long	2250704950                      ; 0x86270836
	;; [unrolled: 1-line block ×6, first 2 shown]
	.long	677982197                       ; 0x28692ff5
	.long	4059323309                      ; 0xf1f45bad
	.long	2014660182                      ; 0x78154656
	;; [unrolled: 1-line block ×5, first 2 shown]
	.long	867809161                       ; 0x33b9b789
	.long	2167953720                      ; 0x81385938
	.long	2290558548                      ; 0x88872654
	.long	417635396                       ; 0x18e49c44
	.long	2125103002                      ; 0x7eaa7f9a
	.long	1890906570                      ; 0x70b4f1ca
	;; [unrolled: 1-line block ×3, first 2 shown]
	.long	807266805                       ; 0x301de9f5
	.long	1226139132                      ; 0x491565fc
	.long	2056644398                      ; 0x7a95e72e
	;; [unrolled: 1-line block ×8, first 2 shown]
	.long	215385887                       ; 0xcd6871f
	.long	845421530                       ; 0x32641bda
	.long	1350380353                      ; 0x507d2b41
	.long	3610667273                      ; 0xd7366909
	;; [unrolled: 1-line block ×7, first 2 shown]
	.long	71403197                        ; 0x44186bd
	.long	219220133                       ; 0xd1108a5
	.long	2181111477                      ; 0x82011eb5
	.long	2000396844                      ; 0x773ba22c
	;; [unrolled: 1-line block ×9, first 2 shown]
	.long	992324522                       ; 0x3b25abaa
	.long	3056113148                      ; 0xb62895fc
	.long	3473635768                      ; 0xcf0b79b8
	.long	782257020                       ; 0x2ea04b7c
	.long	1786902552                      ; 0x6a81f818
	.long	3768542219                      ; 0xe09f640b
	;; [unrolled: 1-line block ×4, first 2 shown]
	.long	856888454                       ; 0x33131486
	.long	2530862473                      ; 0x96d9e589
	.long	2217907094                      ; 0x84329396
	;; [unrolled: 1-line block ×12, first 2 shown]
	.long	616238454                       ; 0x24bb0d76
	.long	2394270012                      ; 0x8eb5a93c
	.long	1796414157                      ; 0x6b131acd
	.long	732700649                       ; 0x2bac1fe9
	.long	2199328374                      ; 0x83171676
	.long	3188624050                      ; 0xbe0e8ab2
	.long	811443809                       ; 0x305da661
	.long	4225173324                      ; 0xfbd7074c
	.long	972036137                       ; 0x39f01829
	.long	2022548260                      ; 0x788da324
	.long	2462701924                      ; 0x92c9d964
	;; [unrolled: 1-line block ×5, first 2 shown]
	.long	450033142                       ; 0x1ad2f5f6
	.long	772942770                       ; 0x2e122bb2
	.long	2224873625                      ; 0x849ce099
	.long	3889840648                      ; 0xe7da4208
	;; [unrolled: 1-line block ×4, first 2 shown]
	.long	915918620                       ; 0x3697cf1c
	.long	3906238422                      ; 0xe8d477d6
	.long	1249098244                      ; 0x4a73ba04
	.long	301668366                       ; 0x11fb180e
	.long	2414090506                      ; 0x8fe4190a
	.long	3798383292                      ; 0xe266babc
	;; [unrolled: 1-line block ×5, first 2 shown]
	.long	152325583                       ; 0x9144dcf
	.long	3499865580                      ; 0xd09bb5ec
	.long	4094273597                      ; 0xf409a83d
	.long	82853050                        ; 0x4f03cba
	.long	3267460249                      ; 0xc2c17c99
	.long	3963199522                      ; 0xec39a022
	;; [unrolled: 1-line block ×5, first 2 shown]
	.long	47361585                        ; 0x2d2ae31
	.long	3408506640                      ; 0xcb29af10
	.long	2468905351                      ; 0x93288187
	;; [unrolled: 1-line block ×6, first 2 shown]
	.long	252381865                       ; 0xf0b0aa9
	.long	409397320                       ; 0x1866e848
	.long	1584154733                      ; 0x5e6c486d
	.long	1716437506                      ; 0x664ec202
	;; [unrolled: 1-line block ×3, first 2 shown]
	.long	922916691                       ; 0x37029753
	.long	10413506                        ; 0x9ee5c2
	.long	1734068880                      ; 0x675bca90
	.long	1591998796                      ; 0x5ee3f94c
	;; [unrolled: 1-line block ×3, first 2 shown]
	.long	104399432                       ; 0x6390248
	.long	4144557684                      ; 0xf708ee74
	.long	1973878859                      ; 0x75a7004b
	;; [unrolled: 1-line block ×3, first 2 shown]
	.long	362625839                       ; 0x159d3b2f
	.long	2591539911                      ; 0x9a77c2c7
	.long	2837165752                      ; 0xa91bb6b8
	;; [unrolled: 1-line block ×5, first 2 shown]
	.long	312410753                       ; 0x129f0281
	.long	2566731139                      ; 0x98fd3583
	.long	3656295687                      ; 0xd9eea507
	.long	687490649                       ; 0x28fa4659
	.long	207904356                       ; 0xc645e64
	;; [unrolled: 1-line block ×6, first 2 shown]
	.long	4272692603                      ; 0xfeac1d7b
	.long	2352732136                      ; 0x8c3bd7e8
	.long	33493163                        ; 0x1ff10ab
	.long	3784169684                      ; 0xe18dd8d4
	.long	1303281526                      ; 0x4dae7f76
	.long	4121521600                      ; 0xf5a96dc0
	.long	2119254314                      ; 0x7e51412a
	.long	42767673                        ; 0x28c9539
	.long	2331527847                      ; 0x8af84aa7
	.long	1734311274                      ; 0x675f7d6a
	;; [unrolled: 1-line block ×5, first 2 shown]
	.long	820692528                       ; 0x30eac630
	.long	4212588163                      ; 0xfb16fe83
	.long	3236687597                      ; 0xc0ebeeed
	.long	299194858                       ; 0x11d559ea
	.long	537384087                       ; 0x2007d497
	;; [unrolled: 1-line block ×3, first 2 shown]
	.long	2250704950                      ; 0x86270836
	.long	1705861659                      ; 0x65ad621b
	;; [unrolled: 1-line block ×5, first 2 shown]
	.long	677982197                       ; 0x28692ff5
	.long	4059323309                      ; 0xf1f45bad
	.long	2014660182                      ; 0x78154656
	;; [unrolled: 1-line block ×5, first 2 shown]
	.long	867809161                       ; 0x33b9b789
	.long	2167953720                      ; 0x81385938
	.long	2290558548                      ; 0x88872654
	.long	542850707                       ; 0x205b3e93
	.long	2125103002                      ; 0x7eaa7f9a
	.long	1890906570                      ; 0x70b4f1ca
	;; [unrolled: 1-line block ×3, first 2 shown]
	.long	807266805                       ; 0x301de9f5
	.long	3803006390                      ; 0xe2ad45b6
	.long	2056644398                      ; 0x7a95e72e
	;; [unrolled: 1-line block ×5, first 2 shown]
	.long	809106036                       ; 0x3039fa74
	.long	3063718636                      ; 0xb69ca2ec
	.long	1807030355                      ; 0x6bb51853
	.long	215385887                       ; 0xcd6871f
	.long	845421530                       ; 0x32641bda
	;; [unrolled: 1-line block ×3, first 2 shown]
	.long	3610667273                      ; 0xd7366909
	.long	2576197887                      ; 0x998da8ff
	;; [unrolled: 1-line block ×6, first 2 shown]
	.long	71403197                        ; 0x44186bd
	.long	219220133                       ; 0xd1108a5
	.long	2181111477                      ; 0x82011eb5
	.long	3826277490                      ; 0xe4105c72
	;; [unrolled: 1-line block ×9, first 2 shown]
	.long	992324522                       ; 0x3b25abaa
	.long	3056113148                      ; 0xb62895fc
	.long	3725661598                      ; 0xde11159e
	.long	782257020                       ; 0x2ea04b7c
	.long	1786902552                      ; 0x6a81f818
	.long	3768542219                      ; 0xe09f640b
	;; [unrolled: 1-line block ×4, first 2 shown]
	.long	856888454                       ; 0x33131486
	.long	2530862473                      ; 0x96d9e589
	.long	2217907094                      ; 0x84329396
	;; [unrolled: 1-line block ×12, first 2 shown]
	.long	616238454                       ; 0x24bb0d76
	.long	3806252779                      ; 0xe2deceeb
	.long	1796414157                      ; 0x6b131acd
	.long	732700649                       ; 0x2bac1fe9
	.long	2199328374                      ; 0x83171676
	.long	3188624050                      ; 0xbe0e8ab2
	.long	983474330                       ; 0x3a9ea09a
	.long	4225173324                      ; 0xfbd7074c
	.long	972036137                       ; 0x39f01829
	.long	2022548260                      ; 0x788da324
	.long	2462701924                      ; 0x92c9d964
	.long	880446667                       ; 0x347a8ccb
	.long	1410793611                      ; 0x5417008b
	.long	1200725173                      ; 0x47919cb5
	.long	450033142                       ; 0x1ad2f5f6
	.long	772942770                       ; 0x2e122bb2
	.long	3179870546                      ; 0xbd88f952
	.long	3889840648                      ; 0xe7da4208
	;; [unrolled: 1-line block ×4, first 2 shown]
	.long	915918620                       ; 0x3697cf1c
	.long	4261932110                      ; 0xfe07ec4e
	.long	1249098244                      ; 0x4a73ba04
	.long	301668366                       ; 0x11fb180e
	.long	2414090506                      ; 0x8fe4190a
	.long	3798383292                      ; 0xe266babc
	;; [unrolled: 3-line block ×4, first 2 shown]
	.long	82853050                        ; 0x4f03cba
	.long	3267460249                      ; 0xc2c17c99
	.long	3963199522                      ; 0xec39a022
	;; [unrolled: 1-line block ×5, first 2 shown]
	.long	47361585                        ; 0x2d2ae31
	.long	3408506640                      ; 0xcb29af10
	.long	2468905351                      ; 0x93288187
	;; [unrolled: 1-line block ×6, first 2 shown]
	.long	252381865                       ; 0xf0b0aa9
	.long	4259927884                      ; 0xfde9574c
	.long	1584154733                      ; 0x5e6c486d
	;; [unrolled: 1-line block ×4, first 2 shown]
	.long	922916691                       ; 0x37029753
	.long	1800164165                      ; 0x6b4c5345
	.long	1734068880                      ; 0x675bca90
	;; [unrolled: 1-line block ×4, first 2 shown]
	.long	104399432                       ; 0x6390248
	.long	2774114308                      ; 0xa559a004
	.long	1973878859                      ; 0x75a7004b
	;; [unrolled: 1-line block ×3, first 2 shown]
	.long	362625839                       ; 0x159d3b2f
	.long	2591539911                      ; 0x9a77c2c7
	.long	2126614872                      ; 0x7ec19158
	;; [unrolled: 1-line block ×5, first 2 shown]
	.long	312410753                       ; 0x129f0281
	.long	4098052715                      ; 0xf443526b
	.long	3656295687                      ; 0xd9eea507
	.long	687490649                       ; 0x28fa4659
	.long	207904356                       ; 0xc645e64
	;; [unrolled: 1-line block ×6, first 2 shown]
	.long	4272692603                      ; 0xfeac1d7b
	.long	2352732136                      ; 0x8c3bd7e8
	;; [unrolled: 1-line block ×12, first 2 shown]
	.long	480821513                       ; 0x1ca8c109
	.long	820692528                       ; 0x30eac630
	.long	4212588163                      ; 0xfb16fe83
	.long	3236687597                      ; 0xc0ebeeed
	.long	299194858                       ; 0x11d559ea
	.long	1128762168                      ; 0x43478b38
	.long	781151234                       ; 0x2e8f6c02
	.long	2250704950                      ; 0x86270836
	.long	1705861659                      ; 0x65ad621b
	;; [unrolled: 1-line block ×3, first 2 shown]
	.long	160918735                       ; 0x9976ccf
	.long	4288008793                      ; 0xff95d259
	.long	677982197                       ; 0x28692ff5
	.long	4059323309                      ; 0xf1f45bad
	.long	2014660182                      ; 0x78154656
	;; [unrolled: 1-line block ×5, first 2 shown]
	.long	867809161                       ; 0x33b9b789
	.long	2167953720                      ; 0x81385938
	.long	3363861382                      ; 0xc8807386
	.long	542850707                       ; 0x205b3e93
	.long	2125103002                      ; 0x7eaa7f9a
	.long	1890906570                      ; 0x70b4f1ca
	;; [unrolled: 1-line block ×9, first 2 shown]
	.long	809106036                       ; 0x3039fa74
	.long	3063718636                      ; 0xb69ca2ec
	.long	1807030355                      ; 0x6bb51853
	.long	215385887                       ; 0xcd6871f
	.long	3528413525                      ; 0xd24f5155
	.long	654189622                       ; 0x26fe2436
	.long	3610667273                      ; 0xd7366909
	.long	2576197887                      ; 0x998da8ff
	;; [unrolled: 1-line block ×3, first 2 shown]
	.long	993221887                       ; 0x3b335cff
	.long	1517875462                      ; 0x5a78f106
	.long	2492912955                      ; 0x9496d53b
	.long	71403197                        ; 0x44186bd
	.long	219220133                       ; 0xd1108a5
	.long	1805256638                      ; 0x6b9a07be
	.long	3826277490                      ; 0xe4105c72
	;; [unrolled: 1-line block ×9, first 2 shown]
	.long	992324522                       ; 0x3b25abaa
	.long	3490576382                      ; 0xd00df7fe
	.long	2532191937                      ; 0x96ee2ec1
	;; [unrolled: 1-line block ×3, first 2 shown]
	.long	802110050                       ; 0x2fcf3a62
	.long	3984561242                      ; 0xed7f945a
	.long	1973015939                      ; 0x7599d583
	.long	1351080551                      ; 0x5087da67
	.long	2382044123                      ; 0x8dfb1bdb
	.long	2393286227                      ; 0x8ea6a653
	.long	860228704                       ; 0x33460c60
	.long	179528099                       ; 0xab361a3
	.long	3569709850                      ; 0xd4c5731a
	.long	233527199                       ; 0xdeb579f
	.long	3657599850                      ; 0xda028b6a
	.long	3269634908                      ; 0xc2e2ab5c
	;; [unrolled: 1-line block ×4, first 2 shown]
	.long	952837871                       ; 0x38cb26ef
	.long	2050210570                      ; 0x7a33bb0a
	.long	2376157484                      ; 0x8da1492c
	;; [unrolled: 1-line block ×4, first 2 shown]
	.long	123440514                       ; 0x75b8d82
	.long	573557299                       ; 0x222fca33
	.long	1585379806                      ; 0x5e7ef9de
	.long	4012659271                      ; 0xef2c5247
	.long	4000306490                      ; 0xee6fd53a
	.long	2508478465                      ; 0x95845801
	.long	970078629                       ; 0x39d239a5
	.long	4064973573                      ; 0xf24a9305
	.long	645149301                       ; 0x26743275
	.long	109544347                       ; 0x687839b
	;; [unrolled: 1-line block ×3, first 2 shown]
	.long	2097163688                      ; 0x7d002da8
	.long	1515080116                      ; 0x5a4e49b4
	;; [unrolled: 1-line block ×9, first 2 shown]
	.long	249059416                       ; 0xed85858
	.long	4282787227                      ; 0xff46259b
	.long	2595461065                      ; 0x9ab397c9
	;; [unrolled: 1-line block ×7, first 2 shown]
	.long	344538405                       ; 0x14893d25
	.long	1946747709                      ; 0x7409033d
	.long	470298928                       ; 0x1c083130
	.long	1033671146                      ; 0x3d9c91ea
	.long	4207801290                      ; 0xfacdf3ca
	;; [unrolled: 1-line block ×6, first 2 shown]
	.long	811222695                       ; 0x305a46a7
	.long	3898833227                      ; 0xe863794b
	.long	3535298390                      ; 0xd2b85f56
	;; [unrolled: 1-line block ×9, first 2 shown]
	.long	997663534                       ; 0x3b77232e
	.long	746627295                       ; 0x2c80a0df
	.long	1827737271                      ; 0x6cf10eb7
	.long	3814054979                      ; 0xe355dc43
	.long	728285698                       ; 0x2b68c202
	.long	1696496343                      ; 0x651e7ad7
	.long	1696888597                      ; 0x65247715
	;; [unrolled: 1-line block ×4, first 2 shown]
	.long	785994134                       ; 0x2ed95196
	.long	1436861536                      ; 0x55a4c460
	.long	1949153732                      ; 0x742db9c4
	;; [unrolled: 1-line block ×6, first 2 shown]
	.long	789998735                       ; 0x2f166c8f
	.long	1155994673                      ; 0x44e71431
	.long	2022469457                      ; 0x788c6f51
	.long	223162974                       ; 0xd4d325e
	.long	309571006                       ; 0x1273adbe
	;; [unrolled: 1-line block ×3, first 2 shown]
	.long	3909032036                      ; 0xe8ff1864
	.long	2531190541                      ; 0x96dee70d
	.long	373676789                       ; 0x1645daf5
	.long	1061107200                      ; 0x3f3f3600
	.long	4231921550                      ; 0xfc3dff8e
	.long	558635876                       ; 0x214c1b64
	.long	2773807977                      ; 0xa554f369
	.long	1860218585                      ; 0x6ee0aed9
	.long	1150041015                      ; 0x448c3bb7
	.long	2252812038                      ; 0x86472f06
	.long	2413330952                      ; 0x8fd88208
	.long	191909567                       ; 0xb704ebf
	.long	3518171813                      ; 0xd1b30aa5
	.long	3513416318                      ; 0xd16a7a7e
	.long	2679253717                      ; 0x9fb22ad5
	;; [unrolled: 6-line block ×4, first 2 shown]
	.long	3754293422                      ; 0xdfc5f8ae
	.long	1942321901                      ; 0x73c57aed
	;; [unrolled: 1-line block ×3, first 2 shown]
	.long	240158224                       ; 0xe508610
	.long	3181132144                      ; 0xbd9c3970
	.long	2281632719                      ; 0x87fef3cf
	.long	808029657                       ; 0x30298dd9
	.long	1721710011                      ; 0x669f35bb
	.long	2287207169                      ; 0x88540301
	.long	3044484177                      ; 0xb5772451
	.long	2363339534                      ; 0x8cddb30e
	.long	805273402                       ; 0x2fff7f3a
	.long	3696016147                      ; 0xdc4cbb13
	.long	3549191229                      ; 0xd38c5c3d
	;; [unrolled: 1-line block ×4, first 2 shown]
	.long	383414270                       ; 0x16da6ffe
	.long	300735554                       ; 0x11ecdc42
	;; [unrolled: 1-line block ×3, first 2 shown]
	.long	1907815837                      ; 0x71b6f59d
	.long	1576327662                      ; 0x5df4d9ee
	;; [unrolled: 1-line block ×7, first 2 shown]
	.long	501440864                       ; 0x1de36160
	.long	642467132                       ; 0x264b453c
	;; [unrolled: 1-line block ×3, first 2 shown]
	.long	1191241925                      ; 0x4700e8c5
	.long	3549838846                      ; 0xd3963dfe
	;; [unrolled: 1-line block ×5, first 2 shown]
	.long	315957218                       ; 0x12d51fe2
	.long	3696758268                      ; 0xdc580dfc
	.long	2502777875                      ; 0x952d5c13
	;; [unrolled: 1-line block ×6, first 2 shown]
	.long	230047417                       ; 0xdb63eb9
	.long	220882755                       ; 0xd2a6743
	;; [unrolled: 1-line block ×3, first 2 shown]
	.long	2600079656                      ; 0x9afa1128
	.long	3103815531                      ; 0xb900776b
	.long	4259457395                      ; 0xfde22973
	.long	306940008                       ; 0x124b8868
	.long	760977254                       ; 0x2d5b9766
	;; [unrolled: 1-line block ×3, first 2 shown]
	.long	73879495                        ; 0x4674fc7
	.long	2342545344                      ; 0x8ba067c0
	.long	572800511                       ; 0x22243dff
	.long	3922797738                      ; 0xe9d124aa
	.long	3754011306                      ; 0xdfc1aaaa
	.long	698257357                       ; 0x299e8fcd
	.long	1274843132                      ; 0x4bfc8ffc
	.long	1455757442                      ; 0x56c51882
	;; [unrolled: 1-line block ×5, first 2 shown]
	.long	613949432                       ; 0x24981ff8
	.long	2267018388                      ; 0x871ff494
	.long	2925762681                      ; 0xae639879
	;; [unrolled: 1-line block ×3, first 2 shown]
	.long	299380602                       ; 0x11d82f7a
	.long	1711070497                      ; 0x65fcdd21
	.long	4140032336                      ; 0xf6c3e150
	;; [unrolled: 1-line block ×5, first 2 shown]
	.long	507121465                       ; 0x1e3a0f39
	.long	3480792188                      ; 0xcf78ac7c
	.long	1862887216                      ; 0x6f096730
	.long	247780795                       ; 0xec4d5bb
	.long	2528677869                      ; 0x96b88fed
	.long	2881446422                      ; 0xabbf6216
	.long	271754977                       ; 0x1032a6e1
	.long	833498724                       ; 0x31ae2e64
	.long	1489102731                      ; 0x58c1e78b
	.long	3636156177                      ; 0xd8bb5711
	;; [unrolled: 1-line block ×5, first 2 shown]
	.long	510437606                       ; 0x1e6ca8e6
	.long	561141583                       ; 0x2172574f
	.long	2979592314                      ; 0xb198f87a
	.long	3844268262                      ; 0xe522e0e6
	;; [unrolled: 1-line block ×8, first 2 shown]
	.long	699310968                       ; 0x29aea378
	.long	1979488062                      ; 0x75fc973e
	.long	277591964                       ; 0x108bb79c
	.long	1312002175                      ; 0x4e33907f
	;; [unrolled: 2-line block ×3, first 2 shown]
	.long	2030631355                      ; 0x7908f9bb
	.long	3097860388                      ; 0xb8a59924
	;; [unrolled: 1-line block ×4, first 2 shown]
	.long	4454933                         ; 0x43fa15
	.long	1890661188                      ; 0x70b13344
	.long	3929835227                      ; 0xea3c86db
	;; [unrolled: 1-line block ×6, first 2 shown]
	.long	280935563                       ; 0x10bebc8b
	.long	113509402                       ; 0x6c4041a
	;; [unrolled: 1-line block ×3, first 2 shown]
	.long	1246395851                      ; 0x4a4a7dcb
	.long	1220916742                      ; 0x48c5b606
	.long	2651515540                      ; 0x9e0aea94
	.long	2058590162                      ; 0x7ab397d2
	.long	1983114332                      ; 0x7633ec5c
	.long	2040467861                      ; 0x799f1195
	.long	780818345                       ; 0x2e8a57a9
	.long	544262576                       ; 0x2070c9b0
	.long	2826997265                      ; 0xa8808e11
	.long	349354812                       ; 0x14d2bb3c
	.long	2360120613                      ; 0x8cac9525
	.long	1181324247                      ; 0x466993d7
	.long	2380347783                      ; 0x8de13987
	.long	3938729706                      ; 0xeac43eea
	.long	1610628643                      ; 0x60003e23
	.long	2008635822                      ; 0x77b959ae
	.long	2937909233                      ; 0xaf1ceff1
	.long	1583978206                      ; 0x5e6996de
	.long	3589167073                      ; 0xd5ee57e1
	.long	1942470196                      ; 0x73c7be34
	.long	402177406                       ; 0x17f8bd7e
	.long	2636510744                      ; 0x9d25f618
	.long	3709747478                      ; 0xdd1e4116
	;; [unrolled: 1-line block ×22, first 2 shown]
	.long	203577834                       ; 0xc2259ea
	.long	2230529041                      ; 0x84f32c11
	.long	2864778434                      ; 0xaac10cc2
	.long	270386174                       ; 0x101dc3fe
	.long	2867122465                      ; 0xaae4d121
	.long	2676624544                      ; 0x9f8a0ca0
	;; [unrolled: 1-line block ×3, first 2 shown]
	.long	500973884                       ; 0x1ddc413c
	.long	2983028740                      ; 0xb1cd6804
	.long	117131866                       ; 0x6fb4a5a
	.long	1456450936                      ; 0x56cfad78
	;; [unrolled: 2-line block ×3, first 2 shown]
	.long	342800398                       ; 0x146eb80e
	.long	255116920                       ; 0xf34c678
	.long	1219580025                      ; 0x48b15079
	.long	1549741331                      ; 0x5c5f2d13
	;; [unrolled: 1-line block ×7, first 2 shown]
	.long	149159438                       ; 0x8e3fe0e
	.long	3593827664                      ; 0xd6357550
	.long	1406572509                      ; 0x53d697dd
	.long	27774796                        ; 0x1a7cf4c
	.long	1138983585                      ; 0x43e382a1
	.long	1577536190                      ; 0x5e074abe
	.long	978350835                       ; 0x3a5072f3
	.long	2704344602                      ; 0xa131061a
	.long	95204061                        ; 0x5acb2dd
	.long	1507155668                      ; 0x59d55ed4
	.long	304760810                       ; 0x122a47ea
	.long	1981315657                      ; 0x76187a49
	.long	3139306913                      ; 0xbb1e05a1
	;; [unrolled: 1-line block ×13, first 2 shown]
	.long	220882755                       ; 0xd2a6743
	.long	630187688                       ; 0x258fe6a8
	.long	2600079656                      ; 0x9afa1128
	.long	3103815531                      ; 0xb900776b
	;; [unrolled: 1-line block ×3, first 2 shown]
	.long	306940008                       ; 0x124b8868
	.long	760977254                       ; 0x2d5b9766
	;; [unrolled: 1-line block ×3, first 2 shown]
	.long	73879495                        ; 0x4674fc7
	.long	1196617651                      ; 0x4752efb3
	.long	572800511                       ; 0x22243dff
	.long	3922797738                      ; 0xe9d124aa
	.long	3754011306                      ; 0xdfc1aaaa
	.long	698257357                       ; 0x299e8fcd
	.long	1982654891                      ; 0x762ce9ab
	.long	1455757442                      ; 0x56c51882
	.long	1014649591                      ; 0x3c7a52f7
	.long	3205662508                      ; 0xbf12872c
	.long	2997738251                      ; 0xb2addb0b
	.long	3769735713                      ; 0xe0b19a21
	.long	2267018388                      ; 0x871ff494
	.long	2925762681                      ; 0xae639879
	.long	3702061213                      ; 0xdca8f89d
	.long	299380602                       ; 0x11d82f7a
	.long	2224634157                      ; 0x8499392d
	.long	4140032336                      ; 0xf6c3e150
	;; [unrolled: 1-line block ×8, first 2 shown]
	.long	247780795                       ; 0xec4d5bb
	.long	2528677869                      ; 0x96b88fed
	.long	300214141                       ; 0x11e4e77d
	.long	271754977                       ; 0x1032a6e1
	;; [unrolled: 1-line block ×3, first 2 shown]
	.long	1489102731                      ; 0x58c1e78b
	.long	3636156177                      ; 0xd8bb5711
	;; [unrolled: 1-line block ×5, first 2 shown]
	.long	510437606                       ; 0x1e6ca8e6
	.long	561141583                       ; 0x2172574f
	.long	2832813585                      ; 0xa8d94e11
	.long	3844268262                      ; 0xe522e0e6
	;; [unrolled: 1-line block ×5, first 2 shown]
	.long	316500941                       ; 0x12dd6bcd
	.long	2478683391                      ; 0x93bdb4ff
	.long	2597550150                      ; 0x9ad37846
	.long	699310968                       ; 0x29aea378
	.long	1979488062                      ; 0x75fc973e
	.long	4092049617                      ; 0xf3e7b8d1
	;; [unrolled: 1-line block ×3, first 2 shown]
	.long	168047351                       ; 0xa0432f7
	.long	1826859926                      ; 0x6ce3ab96
	.long	2030631355                      ; 0x7908f9bb
	;; [unrolled: 1-line block ×5, first 2 shown]
	.long	4454933                         ; 0x43fa15
	.long	1890661188                      ; 0x70b13344
	.long	2602196847                      ; 0x9b1a5f6f
	;; [unrolled: 1-line block ×6, first 2 shown]
	.long	946440664                       ; 0x386989d8
	.long	113509402                       ; 0x6c4041a
	;; [unrolled: 1-line block ×3, first 2 shown]
	.long	1246395851                      ; 0x4a4a7dcb
	.long	1220916742                      ; 0x48c5b606
	;; [unrolled: 1-line block ×6, first 2 shown]
	.long	780818345                       ; 0x2e8a57a9
	.long	3064382079                      ; 0xb6a6c27f
	.long	2826997265                      ; 0xa8808e11
	.long	349354812                       ; 0x14d2bb3c
	.long	2360120613                      ; 0x8cac9525
	.long	1181324247                      ; 0x466993d7
	;; [unrolled: 1-line block ×10, first 2 shown]
	.long	402177406                       ; 0x17f8bd7e
	.long	2636510744                      ; 0x9d25f618
	.long	865459039                       ; 0x3395db5f
	.long	2428569572                      ; 0x90c107e4
	.long	4071828137                      ; 0xf2b32aa9
	;; [unrolled: 1-line block ×20, first 2 shown]
	.long	203577834                       ; 0xc2259ea
	.long	2230529041                      ; 0x84f32c11
	.long	2864778434                      ; 0xaac10cc2
	.long	270386174                       ; 0x101dc3fe
	.long	3024925346                      ; 0xb44cb2a2
	.long	2676624544                      ; 0x9f8a0ca0
	;; [unrolled: 1-line block ×3, first 2 shown]
	.long	500973884                       ; 0x1ddc413c
	.long	2983028740                      ; 0xb1cd6804
	.long	974511421                       ; 0x3a15dd3d
	.long	1456450936                      ; 0x56cfad78
	;; [unrolled: 2-line block ×4, first 2 shown]
	.long	1219580025                      ; 0x48b15079
	.long	1549741331                      ; 0x5c5f2d13
	;; [unrolled: 1-line block ×7, first 2 shown]
	.long	149159438                       ; 0x8e3fe0e
	.long	3593827664                      ; 0xd6357550
	.long	3715984838                      ; 0xdd7d6dc6
	.long	27774796                        ; 0x1a7cf4c
	.long	1138983585                      ; 0x43e382a1
	.long	1577536190                      ; 0x5e074abe
	.long	978350835                       ; 0x3a5072f3
	.long	2060213898                      ; 0x7acc5e8a
	.long	95204061                        ; 0x5acb2dd
	.long	1507155668                      ; 0x59d55ed4
	.long	304760810                       ; 0x122a47ea
	.long	1981315657                      ; 0x76187a49
	.long	774471092                       ; 0x2e297db4
	.long	3908131532                      ; 0xe8f15acc
	.long	3767856445                      ; 0xe094ed3d
	;; [unrolled: 1-line block ×11, first 2 shown]
	.long	220882755                       ; 0xd2a6743
	.long	630187688                       ; 0x258fe6a8
	.long	2600079656                      ; 0x9afa1128
	.long	3647143842                      ; 0xd962ffa2
	;; [unrolled: 1-line block ×3, first 2 shown]
	.long	306940008                       ; 0x124b8868
	.long	760977254                       ; 0x2d5b9766
	;; [unrolled: 1-line block ×3, first 2 shown]
	.long	3406011854                      ; 0xcb039dce
	.long	1196617651                      ; 0x4752efb3
	.long	572800511                       ; 0x22243dff
	.long	3922797738                      ; 0xe9d124aa
	.long	3754011306                      ; 0xdfc1aaaa
	;; [unrolled: 1-line block ×21, first 2 shown]
	.long	247780795                       ; 0xec4d5bb
	.long	3383776045                      ; 0xc9b0532d
	.long	300214141                       ; 0x11e4e77d
	.long	271754977                       ; 0x1032a6e1
	;; [unrolled: 1-line block ×3, first 2 shown]
	.long	1489102731                      ; 0x58c1e78b
	.long	2477093804                      ; 0x93a573ac
	;; [unrolled: 1-line block ×5, first 2 shown]
	.long	510437606                       ; 0x1e6ca8e6
	.long	2361664959                      ; 0x8cc425bf
	.long	2832813585                      ; 0xa8d94e11
	;; [unrolled: 1-line block ×6, first 2 shown]
	.long	316500941                       ; 0x12dd6bcd
	.long	2478683391                      ; 0x93bdb4ff
	.long	2597550150                      ; 0x9ad37846
	.long	699310968                       ; 0x29aea378
	.long	1593029686                      ; 0x5ef3b436
	.long	4092049617                      ; 0xf3e7b8d1
	;; [unrolled: 1-line block ×3, first 2 shown]
	.long	168047351                       ; 0xa0432f7
	.long	1826859926                      ; 0x6ce3ab96
	.long	3922295193                      ; 0xe9c97999
	;; [unrolled: 1-line block ×5, first 2 shown]
	.long	4454933                         ; 0x43fa15
	.long	485374579                       ; 0x1cee3a73
	.long	2602196847                      ; 0x9b1a5f6f
	.long	1008498572                      ; 0x3c1c778c
	;; [unrolled: 1-line block ×5, first 2 shown]
	.long	946440664                       ; 0x386989d8
	.long	113509402                       ; 0x6c4041a
	;; [unrolled: 1-line block ×3, first 2 shown]
	.long	1246395851                      ; 0x4a4a7dcb
	.long	2635764090                      ; 0x9d1a917a
	.long	1314772486                      ; 0x4e5dd606
	.long	2058590162                      ; 0x7ab397d2
	.long	1983114332                      ; 0x7633ec5c
	.long	2040467861                      ; 0x799f1195
	.long	354791                          ; 0x569e7
	.long	3064382079                      ; 0xb6a6c27f
	.long	2826997265                      ; 0xa8808e11
	.long	349354812                       ; 0x14d2bb3c
	.long	2360120613                      ; 0x8cac9525
	.long	2126504772                      ; 0x7ebfe344
	;; [unrolled: 1-line block ×10, first 2 shown]
	.long	402177406                       ; 0x17f8bd7e
	.long	806469309                       ; 0x3011bebd
	;; [unrolled: 1-line block ×3, first 2 shown]
	.long	2428569572                      ; 0x90c107e4
	.long	4071828137                      ; 0xf2b32aa9
	;; [unrolled: 1-line block ×18, first 2 shown]
	.long	238446394                       ; 0xe36673a
	.long	3101079227                      ; 0xb8d6b6bb
	.long	203577834                       ; 0xc2259ea
	.long	2230529041                      ; 0x84f32c11
	.long	2864778434                      ; 0xaac10cc2
	.long	653319712                       ; 0x26f0de20
	.long	3024925346                      ; 0xb44cb2a2
	.long	2676624544                      ; 0x9f8a0ca0
	;; [unrolled: 1-line block ×3, first 2 shown]
	.long	500973884                       ; 0x1ddc413c
	.long	3839534784                      ; 0xe4daa6c0
	.long	974511421                       ; 0x3a15dd3d
	.long	1456450936                      ; 0x56cfad78
	;; [unrolled: 2-line block ×4, first 2 shown]
	.long	1219580025                      ; 0x48b15079
	.long	1549741331                      ; 0x5c5f2d13
	;; [unrolled: 1-line block ×7, first 2 shown]
	.long	149159438                       ; 0x8e3fe0e
	.long	1699607068                      ; 0x654df21c
	.long	3715984838                      ; 0xdd7d6dc6
	.long	27774796                        ; 0x1a7cf4c
	.long	1138983585                      ; 0x43e382a1
	.long	1577536190                      ; 0x5e074abe
	.long	837921790                       ; 0x31f1abfe
	.long	2060213898                      ; 0x7acc5e8a
	.long	95204061                        ; 0x5acb2dd
	.long	1507155668                      ; 0x59d55ed4
	.long	304760810                       ; 0x122a47ea
	.long	1446133066                      ; 0x56323d4a
	.long	774471092                       ; 0x2e297db4
	.long	3908131532                      ; 0xe8f15acc
	.long	3767856445                      ; 0xe094ed3d
	;; [unrolled: 1-line block ×11, first 2 shown]
	.long	220882755                       ; 0xd2a6743
	.long	630187688                       ; 0x258fe6a8
	.long	1599074811                      ; 0x5f4ff1fb
	.long	3647143842                      ; 0xd962ffa2
	;; [unrolled: 1-line block ×3, first 2 shown]
	.long	306940008                       ; 0x124b8868
	.long	760977254                       ; 0x2d5b9766
	.long	3020017536                      ; 0xb401cf80
	.long	3406011854                      ; 0xcb039dce
	;; [unrolled: 1-line block ×3, first 2 shown]
	.long	572800511                       ; 0x22243dff
	.long	3922797738                      ; 0xe9d124aa
	.long	810584907                       ; 0x30508b4b
	.long	2314291278                      ; 0x89f1484e
	.long	1982654891                      ; 0x762ce9ab
	;; [unrolled: 1-line block ×9, first 2 shown]
	.long	319055602                       ; 0x130466f2
	.long	1593850639                      ; 0x5f003b0f
	.long	2224634157                      ; 0x8499392d
	;; [unrolled: 1-line block ×9, first 2 shown]
	.long	659607854                       ; 0x2750d12e
	.long	3383776045                      ; 0xc9b0532d
	.long	300214141                       ; 0x11e4e77d
	.long	271754977                       ; 0x1032a6e1
	.long	833498724                       ; 0x31ae2e64
	.long	4054679386                      ; 0xf1ad7f5a
	.long	2477093804                      ; 0x93a573ac
	.long	1683033001                      ; 0x64510ba9
	.long	2011839858                      ; 0x77ea3d72
	.long	2353400914                      ; 0x8c460c52
	.long	283191425                       ; 0x10e12881
	.long	2361664959                      ; 0x8cc425bf
	.long	2832813585                      ; 0xa8d94e11
	;; [unrolled: 1-line block ×4, first 2 shown]
	.long	137688840                       ; 0x834f708
	.long	1468705704                      ; 0x578aaba8
	.long	316500941                       ; 0x12dd6bcd
	.long	2478683391                      ; 0x93bdb4ff
	.long	2597550150                      ; 0x9ad37846
	.long	1468220070                      ; 0x578342a6
	.long	1593029686                      ; 0x5ef3b436
	.long	4092049617                      ; 0xf3e7b8d1
	.long	1312002175                      ; 0x4e33907f
	.long	168047351                       ; 0xa0432f7
	.long	1602414610                      ; 0x5f82e812
	.long	3922295193                      ; 0xe9c97999
	.long	2797906491                      ; 0xa6c4aa3b
	.long	1950614326                      ; 0x74440336
	.long	4070838751                      ; 0xf2a411df
	;; [unrolled: 7-line block ×3, first 2 shown]
	.long	946440664                       ; 0x386989d8
	.long	113509402                       ; 0x6c4041a
	;; [unrolled: 1-line block ×4, first 2 shown]
	.long	2635764090                      ; 0x9d1a917a
	.long	1314772486                      ; 0x4e5dd606
	;; [unrolled: 1-line block ×5, first 2 shown]
	.long	354791                          ; 0x569e7
	.long	3064382079                      ; 0xb6a6c27f
	.long	2826997265                      ; 0xa8808e11
	.long	349354812                       ; 0x14d2bb3c
	.long	249430921                       ; 0xede0389
	.long	2126504772                      ; 0x7ebfe344
	.long	3434653713                      ; 0xccb8a811
	;; [unrolled: 1-line block ×4, first 2 shown]
	.long	967431506                       ; 0x39a9d552
	.long	2400061949                      ; 0x8f0e09fd
	.long	2815835447                      ; 0xa7d63d37
	;; [unrolled: 1-line block ×4, first 2 shown]
	.long	669129162                       ; 0x27e219ca
	.long	806469309                       ; 0x3011bebd
	;; [unrolled: 1-line block ×3, first 2 shown]
	.long	2428569572                      ; 0x90c107e4
	.long	4071828137                      ; 0xf2b32aa9
	;; [unrolled: 1-line block ×18, first 2 shown]
	.long	238446394                       ; 0xe36673a
	.long	3101079227                      ; 0xb8d6b6bb
	.long	203577834                       ; 0xc2259ea
	.long	2230529041                      ; 0x84f32c11
	.long	1087760616                      ; 0x40d5e8e8
	.long	653319712                       ; 0x26f0de20
	.long	3024925346                      ; 0xb44cb2a2
	.long	2676624544                      ; 0x9f8a0ca0
	;; [unrolled: 1-line block ×3, first 2 shown]
	.long	741014356                       ; 0x2c2afb54
	.long	3839534784                      ; 0xe4daa6c0
	.long	974511421                       ; 0x3a15dd3d
	.long	1456450936                      ; 0x56cfad78
	.long	429171245                       ; 0x1994a22d
	.long	598362053                       ; 0x23aa47c5
	;; [unrolled: 1-line block ×3, first 2 shown]
	.long	1540218139                      ; 0x5bcddd1b
	.long	1219580025                      ; 0x48b15079
	;; [unrolled: 1-line block ×3, first 2 shown]
	.long	401740328                       ; 0x17f21228
	.long	1068872823                      ; 0x3fb5b477
	.long	2195381148                      ; 0x82dadb9c
	;; [unrolled: 1-line block ×4, first 2 shown]
	.long	412110161                       ; 0x18904d51
	.long	1699607068                      ; 0x654df21c
	.long	3715984838                      ; 0xdd7d6dc6
	.long	27774796                        ; 0x1a7cf4c
	.long	1138983585                      ; 0x43e382a1
	.long	1531670562                      ; 0x5b4b7022
	.long	837921790                       ; 0x31f1abfe
	.long	2060213898                      ; 0x7acc5e8a
	.long	95204061                        ; 0x5acb2dd
	.long	1507155668                      ; 0x59d55ed4
	.long	90279751                        ; 0x5618f47
	.long	1446133066                      ; 0x56323d4a
	.long	774471092                       ; 0x2e297db4
	.long	3908131532                      ; 0xe8f15acc
	.long	3767856445                      ; 0xe094ed3d
	;; [unrolled: 1-line block ×7, first 2 shown]
	.long	857721974                       ; 0x331fcc76
	.long	1470900829                      ; 0x57ac2a5d
	.long	64550776                        ; 0x3d8f778
	.long	3252081369                      ; 0xc1d6d2d9
	.long	1649342279                      ; 0x624ef747
	.long	378546910                       ; 0x16902ade
	.long	3444980597                      ; 0xcd563b75
	.long	3134750739                      ; 0xbad88013
	;; [unrolled: 1-line block ×11, first 2 shown]
	.long	773928818                       ; 0x2e213772
	.long	25836261                        ; 0x18a3ae5
	.long	3812652461                      ; 0xe34075ad
	.long	3870603819                      ; 0xe6b4ba2b
	.long	931071963                       ; 0x377f07db
	.long	2565579710                      ; 0x98eba3be
	.long	2930918109                      ; 0xaeb242dd
	;; [unrolled: 1-line block ×5, first 2 shown]
	.long	430797922                       ; 0x19ad7462
	.long	2102409587                      ; 0x7d503973
	.long	720592077                       ; 0x2af35ccd
	.long	1675280068                      ; 0x63dabec4
	.long	2578226918                      ; 0x99ac9ee6
	;; [unrolled: 1-line block ×4, first 2 shown]
	.long	682896800                       ; 0x28b42da0
	.long	1861125007                      ; 0x6eee838f
	.long	251332674                       ; 0xefb0842
	.long	1502078012                      ; 0x5987e43c
	.long	3020904394                      ; 0xb40f57ca
	;; [unrolled: 1-line block ×8, first 2 shown]
	.long	962708070                       ; 0x3961c266
	.long	3896576937                      ; 0xe8410ba9
	.long	3764679740                      ; 0xe064743c
	;; [unrolled: 1-line block ×7, first 2 shown]
	.long	731828142                       ; 0x2b9ecfae
	.long	1765772975                      ; 0x693f8eaf
	.long	1195727587                      ; 0x47455ae3
	;; [unrolled: 1-line block ×6, first 2 shown]
	.long	683981262                       ; 0x28c4b9ce
	.long	607599877                       ; 0x24373d05
	.long	3659273671                      ; 0xda1c15c7
	.long	3230354324                      ; 0xc08b4b94
	;; [unrolled: 1-line block ×19, first 2 shown]
	.long	400707931                       ; 0x17e2515b
	.long	3159618664                      ; 0xbc53f468
	.long	2129750192                      ; 0x7ef168b0
	.long	911779896                       ; 0x3658a838
	.long	2736829998                      ; 0xa320b62e
	.long	1909644954                      ; 0x71d2de9a
	;; [unrolled: 1-line block ×5, first 2 shown]
	.long	509297602                       ; 0x1e5b43c2
	.long	769296769                       ; 0x2dda8981
	.long	1865028750                      ; 0x6f2a148e
	.long	43276967                        ; 0x2945aa7
	.long	3375387845                      ; 0xc93054c5
	.long	2647467777                      ; 0x9dcd2701
	;; [unrolled: 1-line block ×5, first 2 shown]
	.long	485490313                       ; 0x1ceffe89
	.long	3523606596                      ; 0xd205f844
	.long	2880752852                      ; 0xabb4ccd4
	;; [unrolled: 1-line block ×7, first 2 shown]
	.long	334412170                       ; 0x13eeb98a
	.long	2054111717                      ; 0x7a6f41e5
	.long	269013084                       ; 0x1008d05c
	.long	170401553                       ; 0xa281f11
	.long	3456013554                      ; 0xcdfe94f2
	.long	3395842846                      ; 0xca68731e
	.long	508189059                       ; 0x1e4a5983
	.long	3398715186                      ; 0xca944732
	.long	3862791669                      ; 0xe63d85f5
	;; [unrolled: 1-line block ×3, first 2 shown]
	.long	65318715                        ; 0x3e4af3b
	.long	1933435210                      ; 0x733de14a
	.long	4086198650                      ; 0xf38e717a
	;; [unrolled: 1-line block ×7, first 2 shown]
	.long	562380742                       ; 0x21853fc6
	.long	961415837                       ; 0x394e0a9d
	.long	2990412400                      ; 0xb23e1270
	.long	3597720222                      ; 0xd670da9e
	;; [unrolled: 1-line block ×4, first 2 shown]
	.long	966564784                       ; 0x399c9bb0
	.long	1875616532                      ; 0x6fcba314
	.long	394646945                       ; 0x1785d5a1
	.long	1386107842                      ; 0x529e53c2
	.long	2750810827                      ; 0xa3f60acb
	;; [unrolled: 1-line block ×9, first 2 shown]
	.long	515002680                       ; 0x1eb25138
	.long	521510516                       ; 0x1f159e74
	;; [unrolled: 1-line block ×3, first 2 shown]
	.long	1873460781                      ; 0x6faabe2d
	.long	1583027667                      ; 0x5e5b15d3
	.long	613895001                       ; 0x24974b59
	.long	557578628                       ; 0x213bf984
	.long	1892686243                      ; 0x70d019a3
	.long	1974572772                      ; 0x75b196e4
	.long	595831726                       ; 0x2383abae
	.long	229299738                       ; 0xdaad61a
	.long	3847982294                      ; 0xe55b8cd6
	.long	448248098                       ; 0x1ab7b922
	.long	1493822844                      ; 0x5909ed7c
	.long	3326405260                      ; 0xc644ea8c
	.long	2752463855                      ; 0xa40f43ef
	.long	128616819                       ; 0x7aa8973
	.long	2014765631                      ; 0x7816e23f
	.long	3938779303                      ; 0xeac500a7
	.long	1811986049                      ; 0x6c00b681
	.long	2101875601                      ; 0x7d481391
	.long	887194972                       ; 0x34e1855c
	.long	3966228860                      ; 0xec67d97c
	;; [unrolled: 5-line block ×3, first 2 shown]
	.long	1228097256                      ; 0x493346e8
	.long	2368258457                      ; 0x8d28c199
	;; [unrolled: 1-line block ×7, first 2 shown]
	.long	978138132                       ; 0x3a4d3414
	.long	3603597064                      ; 0xd6ca8708
	.long	342571522                       ; 0x146b3a02
	.long	2100072168                      ; 0x7d2c8ee8
	;; [unrolled: 2-line block ×3, first 2 shown]
	.long	3713317279                      ; 0xdd54b99f
	.long	4255773013                      ; 0xfda9f155
	;; [unrolled: 1-line block ×12, first 2 shown]
	.long	754215285                       ; 0x2cf46975
	.long	2832638094                      ; 0xa8d6a08e
	.long	1365153701                      ; 0x515e97a5
	;; [unrolled: 1-line block ×3, first 2 shown]
	.long	765738141                       ; 0x2da43c9d
	.long	1177808869                      ; 0x4633efe5
	.long	324127419                       ; 0x1351cabb
	.long	1171195868                      ; 0x45cf07dc
	.long	3494966448                      ; 0xd050f4b0
	;; [unrolled: 1-line block ×4, first 2 shown]
	.long	603810292                       ; 0x23fd69f4
	.long	489970006                       ; 0x1d345956
	.long	3126166124                      ; 0xba55826c
	.long	1616642501                      ; 0x605c01c5
	;; [unrolled: 1-line block ×3, first 2 shown]
	.long	734727001                       ; 0x2bcb0b59
	.long	118064420                       ; 0x7098524
	.long	1164195304                      ; 0x456435e8
	.long	3692353914                      ; 0xdc14d97a
	;; [unrolled: 1-line block ×3, first 2 shown]
	.long	405457397                       ; 0x182ac9f5
	.long	2510437259                      ; 0x95a23b8b
	.long	3245015882                      ; 0xc16b034a
	;; [unrolled: 1-line block ×3, first 2 shown]
	.long	967046702                       ; 0x39a3f62e
	.long	265790493                       ; 0xfd7a41d
	.long	3007163818                      ; 0xb33dadaa
	.long	3178475505                      ; 0xbd73aff1
	;; [unrolled: 1-line block ×8, first 2 shown]
	.long	657897796                       ; 0x2736b944
	.long	1762205546                      ; 0x69091f6a
	.long	3895944199                      ; 0xe8376407
	.long	693988565                       ; 0x295d6cd5
	.long	2359023506                      ; 0x8c9bd792
	.long	1667660316                      ; 0x63667a1c
	;; [unrolled: 3-line block ×3, first 2 shown]
	.long	202416031                       ; 0xc109f9f
	.long	855532642                       ; 0x32fe6462
	.long	2290137962                      ; 0x8880bb6a
	.long	1573485803                      ; 0x5dc97ceb
	;; [unrolled: 1-line block ×9, first 2 shown]
	.long	197451178                       ; 0xbc4ddaa
	.long	1729118168                      ; 0x67103fd8
	.long	876472937                       ; 0x343dea69
	.long	3201705210                      ; 0xbed624fa
	.long	2315408645                      ; 0x8a025505
	.long	699968623                       ; 0x29b8ac6f
	.long	2185639066                      ; 0x8246349a
	;; [unrolled: 3-line block ×3, first 2 shown]
	.long	266371152                       ; 0xfe08050
	.long	2714506838                      ; 0xa1cc1656
	.long	945022093                       ; 0x3853e48d
	.long	1378798863                      ; 0x522ecd0f
	.long	1925020181                      ; 0x72bd7a15
	.long	574417318                       ; 0x223ce9a6
	.long	1341455098                      ; 0x4ff4fafa
	.long	3664225722                      ; 0xda67a5ba
	.long	3020780778                      ; 0xb40d74ea
	.long	3256613994                      ; 0xc21bfc6a
	.long	2081255019                      ; 0x7c0d6e6b
	.long	3082744844                      ; 0xb7bef40c
	.long	3572803922                      ; 0xd4f4a952
	.long	1726854692                      ; 0x66edb624
	.long	1167777002                      ; 0x459adcea
	.long	557257486                       ; 0x2137130e
	.long	3577067012                      ; 0xd535b604
	.long	3806913480                      ; 0xe2e8e3c8
	;; [unrolled: 1-line block ×5, first 2 shown]
	.long	826138924                       ; 0x313de12c
	.long	670145071                       ; 0x27f19a2f
	;; [unrolled: 1-line block ×4, first 2 shown]
	.long	2008704579                      ; 0x77ba6643
	.long	804955545                       ; 0x2ffaa599
	.long	4184114494                      ; 0xf964853e
	.long	867004874                       ; 0x33ad71ca
	.long	3586861289                      ; 0xd5cb28e9
	.long	1190193155                      ; 0x46f0e803
	;; [unrolled: 1-line block ×7, first 2 shown]
	.long	973990634                       ; 0x3a0deaea
	.long	3981493346                      ; 0xed50c462
	.long	1972746975                      ; 0x7595badf
	;; [unrolled: 1-line block ×4, first 2 shown]
	.long	691038334                       ; 0x2930687e
	.long	775610724                       ; 0x2e3ae164
	.long	3837025597                      ; 0xe4b45d3d
	.long	714850057                       ; 0x2a9bbf09
	.long	2912426839                      ; 0xad981b57
	;; [unrolled: 2-line block ×3, first 2 shown]
	.long	2096154755                      ; 0x7cf0c883
	.long	1645117543                      ; 0x620e8067
	;; [unrolled: 1-line block ×7, first 2 shown]
	.long	49523828                        ; 0x2f3ac74
	.long	2228313334                      ; 0x84d15cf6
	.long	4013648604                      ; 0xef3b6adc
	;; [unrolled: 1-line block ×13, first 2 shown]
	.long	532118065                       ; 0x1fb77a31
	.long	3181099213                      ; 0xbd9bb8cd
	.long	1228097256                      ; 0x493346e8
	.long	2368258457                      ; 0x8d28c199
	.long	2953933351                      ; 0xb0117227
	.long	896129082                       ; 0x3569d83a
	.long	1657799516                      ; 0x62d0035c
	.long	3525421629                      ; 0xd221aa3d
	;; [unrolled: 1-line block ×3, first 2 shown]
	.long	978138132                       ; 0x3a4d3414
	.long	3403930517                      ; 0xcae3db95
	.long	342571522                       ; 0x146b3a02
	.long	2100072168                      ; 0x7d2c8ee8
	.long	676229632                       ; 0x284e7200
	.long	2062864895                      ; 0x7af4d1ff
	.long	38934050                        ; 0x2521622
	.long	4255773013                      ; 0xfda9f155
	.long	1179492389                      ; 0x464da025
	;; [unrolled: 1-line block ×11, first 2 shown]
	.long	754215285                       ; 0x2cf46975
	.long	2832638094                      ; 0xa8d6a08e
	.long	1365153701                      ; 0x515e97a5
	;; [unrolled: 1-line block ×3, first 2 shown]
	.long	765738141                       ; 0x2da43c9d
	.long	1177808869                      ; 0x4633efe5
	.long	324127419                       ; 0x1351cabb
	.long	1171195868                      ; 0x45cf07dc
	;; [unrolled: 2-line block ×3, first 2 shown]
	.long	3645762436                      ; 0xd94deb84
	.long	603810292                       ; 0x23fd69f4
	.long	489970006                       ; 0x1d345956
	.long	344948229                       ; 0x148f7e05
	.long	1616642501                      ; 0x605c01c5
	.long	2646836239                      ; 0x9dc3840f
	.long	734727001                       ; 0x2bcb0b59
	.long	118064420                       ; 0x7098524
	.long	3360380275                      ; 0xc84b5573
	.long	3692353914                      ; 0xdc14d97a
	;; [unrolled: 1-line block ×3, first 2 shown]
	.long	405457397                       ; 0x182ac9f5
	.long	2510437259                      ; 0x95a23b8b
	.long	3697919521                      ; 0xdc69c621
	;; [unrolled: 1-line block ×3, first 2 shown]
	.long	967046702                       ; 0x39a3f62e
	.long	265790493                       ; 0xfd7a41d
	.long	3007163818                      ; 0xb33dadaa
	.long	1395299303                      ; 0x532a93e7
	;; [unrolled: 1-line block ×6, first 2 shown]
	.long	849544728                       ; 0x32a30618
	.long	4185567242                      ; 0xf97ab00a
	.long	657897796                       ; 0x2736b944
	.long	1762205546                      ; 0x69091f6a
	.long	3895944199                      ; 0xe8376407
	;; [unrolled: 1-line block ×5, first 2 shown]
	.long	478341078                       ; 0x1c82e7d6
	.long	1898651054                      ; 0x712b1dae
	.long	943166064                       ; 0x38379270
	.long	202416031                       ; 0xc109f9f
	;; [unrolled: 1-line block ×3, first 2 shown]
	.long	2290137962                      ; 0x8880bb6a
	.long	1573485803                      ; 0x5dc97ceb
	;; [unrolled: 1-line block ×9, first 2 shown]
	.long	197451178                       ; 0xbc4ddaa
	.long	1729118168                      ; 0x67103fd8
	.long	876472937                       ; 0x343dea69
	.long	94688481                        ; 0x5a4d4e1
	.long	2315408645                      ; 0x8a025505
	.long	699968623                       ; 0x29b8ac6f
	.long	2185639066                      ; 0x8246349a
	.long	3960900430                      ; 0xec168b4e
	;; [unrolled: 1-line block ×4, first 2 shown]
	.long	266371152                       ; 0xfe08050
	.long	2714506838                      ; 0xa1cc1656
	.long	945022093                       ; 0x3853e48d
	.long	2683523818                      ; 0x9ff352ea
	.long	1925020181                      ; 0x72bd7a15
	.long	574417318                       ; 0x223ce9a6
	.long	1341455098                      ; 0x4ff4fafa
	.long	3664225722                      ; 0xda67a5ba
	;; [unrolled: 1-line block ×9, first 2 shown]
	.long	557257486                       ; 0x2137130e
	.long	3577067012                      ; 0xd535b604
	.long	3806913480                      ; 0xe2e8e3c8
	.long	740433434                       ; 0x2c221e1a
	.long	2631896730                      ; 0x9cdf8e9a
	.long	3937479909                      ; 0xeab12ce5
	.long	826138924                       ; 0x313de12c
	.long	670145071                       ; 0x27f19a2f
	.long	4127240538                      ; 0xf600b15a
	.long	715875283                       ; 0x2aab63d3
	.long	2008704579                      ; 0x77ba6643
	;; [unrolled: 2-line block ×3, first 2 shown]
	.long	1692532062                      ; 0x64e1fd5e
	.long	3586861289                      ; 0xd5cb28e9
	;; [unrolled: 1-line block ×5, first 2 shown]
	.long	922306057                       ; 0x36f94609
	.long	2206084232                      ; 0x837e2c88
	.long	1621944575                      ; 0x60ace8ff
	.long	973990634                       ; 0x3a0deaea
	.long	3981493346                      ; 0xed50c462
	.long	3555073644                      ; 0xd3e61e6c
	;; [unrolled: 1-line block ×4, first 2 shown]
	.long	691038334                       ; 0x2930687e
	.long	775610724                       ; 0x2e3ae164
	.long	1798939042                      ; 0x6b39a1a2
	.long	714850057                       ; 0x2a9bbf09
	.long	2912426839                      ; 0xad981b57
	.long	774555258                       ; 0x2e2ac67a
	.long	3553866253                      ; 0xd3d3b20d
	.long	4209859609                      ; 0xfaed5c19
	.long	1645117543                      ; 0x620e8067
	;; [unrolled: 1-line block ×7, first 2 shown]
	.long	49523828                        ; 0x2f3ac74
	.long	2228313334                      ; 0x84d15cf6
	.long	4013648604                      ; 0xef3b6adc
	;; [unrolled: 1-line block ×13, first 2 shown]
	.long	532118065                       ; 0x1fb77a31
	.long	3181099213                      ; 0xbd9bb8cd
	.long	1228097256                      ; 0x493346e8
	;; [unrolled: 1-line block ×3, first 2 shown]
	.long	649921441                       ; 0x26bd03a1
	.long	896129082                       ; 0x3569d83a
	.long	1657799516                      ; 0x62d0035c
	.long	3525421629                      ; 0xd221aa3d
	;; [unrolled: 1-line block ×5, first 2 shown]
	.long	342571522                       ; 0x146b3a02
	.long	2100072168                      ; 0x7d2c8ee8
	.long	676229632                       ; 0x284e7200
	.long	3090148374                      ; 0xb82fec16
	.long	38934050                        ; 0x2521622
	.long	4255773013                      ; 0xfda9f155
	.long	1179492389                      ; 0x464da025
	;; [unrolled: 1-line block ×11, first 2 shown]
	.long	754215285                       ; 0x2cf46975
	.long	2832638094                      ; 0xa8d6a08e
	.long	731392091                       ; 0x2b98285b
	.long	1406220165                      ; 0x53d13785
	;; [unrolled: 2-line block ×3, first 2 shown]
	.long	324127419                       ; 0x1351cabb
	.long	12876722                        ; 0xc47bb2
	.long	625985592                       ; 0x254fc838
	.long	1714410667                      ; 0x662fd4ab
	.long	3645762436                      ; 0xd94deb84
	.long	603810292                       ; 0x23fd69f4
	.long	2789313462                      ; 0xa6418bb6
	.long	344948229                       ; 0x148f7e05
	.long	1616642501                      ; 0x605c01c5
	.long	2646836239                      ; 0x9dc3840f
	.long	734727001                       ; 0x2bcb0b59
	.long	3369486664                      ; 0xc8d64948
	.long	3360380275                      ; 0xc84b5573
	.long	3692353914                      ; 0xdc14d97a
	.long	2267623847                      ; 0x872931a7
	.long	405457397                       ; 0x182ac9f5
	.long	4284067044                      ; 0xff59ace4
	.long	3697919521                      ; 0xdc69c621
	;; [unrolled: 1-line block ×3, first 2 shown]
	.long	967046702                       ; 0x39a3f62e
	.long	265790493                       ; 0xfd7a41d
	.long	2779045063                      ; 0xa5a4dcc7
	.long	1395299303                      ; 0x532a93e7
	;; [unrolled: 1-line block ×6, first 2 shown]
	.long	849544728                       ; 0x32a30618
	.long	4185567242                      ; 0xf97ab00a
	.long	657897796                       ; 0x2736b944
	.long	1762205546                      ; 0x69091f6a
	.long	2086953994                      ; 0x7c64640a
	;; [unrolled: 1-line block ×5, first 2 shown]
	.long	478341078                       ; 0x1c82e7d6
	.long	4137166515                      ; 0xf69826b3
	.long	943166064                       ; 0x38379270
	.long	202416031                       ; 0xc109f9f
	;; [unrolled: 1-line block ×3, first 2 shown]
	.long	2290137962                      ; 0x8880bb6a
	.long	1053737970                      ; 0x3ecec3f2
	;; [unrolled: 1-line block ×9, first 2 shown]
	.long	197451178                       ; 0xbc4ddaa
	.long	1729118168                      ; 0x67103fd8
	.long	4162077327                      ; 0xf814428f
	.long	94688481                        ; 0x5a4d4e1
	.long	2315408645                      ; 0x8a025505
	.long	699968623                       ; 0x29b8ac6f
	.long	2185639066                      ; 0x8246349a
	.long	2842562270                      ; 0xa96e0ede
	;; [unrolled: 1-line block ×4, first 2 shown]
	.long	266371152                       ; 0xfe08050
	.long	2714506838                      ; 0xa1cc1656
	.long	755620309                       ; 0x2d09d9d5
	.long	2683523818                      ; 0x9ff352ea
	.long	1925020181                      ; 0x72bd7a15
	.long	574417318                       ; 0x223ce9a6
	.long	1341455098                      ; 0x4ff4fafa
	.long	3323621213                      ; 0xc61a6f5d
	;; [unrolled: 1-line block ×9, first 2 shown]
	.long	557257486                       ; 0x2137130e
	.long	3577067012                      ; 0xd535b604
	.long	66225918                        ; 0x3f286fe
	.long	740433434                       ; 0x2c221e1a
	.long	2631896730                      ; 0x9cdf8e9a
	.long	3937479909                      ; 0xeab12ce5
	.long	826138924                       ; 0x313de12c
	.long	522548622                       ; 0x1f25758e
	.long	4127240538                      ; 0xf600b15a
	.long	715875283                       ; 0x2aab63d3
	.long	2008704579                      ; 0x77ba6643
	.long	804955545                       ; 0x2ffaa599
	.long	22190845                        ; 0x1529afd
	.long	1692532062                      ; 0x64e1fd5e
	.long	3586861289                      ; 0xd5cb28e9
	.long	1190193155                      ; 0x46f0e803
	.long	3288754776                      ; 0xc4066a58
	.long	610751818                       ; 0x2467554a
	.long	922306057                       ; 0x36f94609
	.long	2206084232                      ; 0x837e2c88
	.long	1621944575                      ; 0x60ace8ff
	.long	973990634                       ; 0x3a0deaea
	.long	1771882567                      ; 0x699cc847
	.long	3555073644                      ; 0xd3e61e6c
	;; [unrolled: 1-line block ×4, first 2 shown]
	.long	691038334                       ; 0x2930687e
	.long	149995790                       ; 0x8f0c10e
	.long	1798939042                      ; 0x6b39a1a2
	.long	714850057                       ; 0x2a9bbf09
	.long	2912426839                      ; 0xad981b57
	;; [unrolled: 2-line block ×3, first 2 shown]
	.long	4209859609                      ; 0xfaed5c19
	.long	1645117543                      ; 0x620e8067
	;; [unrolled: 1-line block ×4, first 2 shown]
	.long	460813741                       ; 0x1b7775ad
	.long	2169159734                      ; 0x814ac036
	.long	1090530001                      ; 0x41002ad1
	.long	49523828                        ; 0x2f3ac74
	.long	2228313334                      ; 0x84d15cf6
	.long	504317288                       ; 0x1e0f4568
	.long	1499948031                      ; 0x596763ff
	.long	2749397923                      ; 0xa3e07ba3
	;; [unrolled: 1-line block ×11, first 2 shown]
	.long	532118065                       ; 0x1fb77a31
	.long	3181099213                      ; 0xbd9bb8cd
	.long	1228097256                      ; 0x493346e8
	;; [unrolled: 1-line block ×3, first 2 shown]
	.long	649921441                       ; 0x26bd03a1
	.long	896129082                       ; 0x3569d83a
	.long	1657799516                      ; 0x62d0035c
	.long	3525421629                      ; 0xd221aa3d
	;; [unrolled: 1-line block ×5, first 2 shown]
	.long	342571522                       ; 0x146b3a02
	.long	2100072168                      ; 0x7d2c8ee8
	.long	1099053459                      ; 0x41823993
	;; [unrolled: 1-line block ×3, first 2 shown]
	.long	38934050                        ; 0x2521622
	.long	4255773013                      ; 0xfda9f155
	.long	1179492389                      ; 0x464da025
	;; [unrolled: 1-line block ×11, first 2 shown]
	.long	754215285                       ; 0x2cf46975
	.long	3674851127                      ; 0xdb09c737
	.long	731392091                       ; 0x2b98285b
	.long	1406220165                      ; 0x53d13785
	;; [unrolled: 2-line block ×3, first 2 shown]
	.long	776475327                       ; 0x2e4812bf
	.long	12876722                        ; 0xc47bb2
	.long	625985592                       ; 0x254fc838
	.long	1714410667                      ; 0x662fd4ab
	.long	3645762436                      ; 0xd94deb84
	.long	759189800                       ; 0x2d405128
	.long	2789313462                      ; 0xa6418bb6
	.long	344948229                       ; 0x148f7e05
	.long	1616642501                      ; 0x605c01c5
	.long	2646836239                      ; 0x9dc3840f
	;; [unrolled: 1-line block ×11, first 2 shown]
	.long	967046702                       ; 0x39a3f62e
	.long	3601311392                      ; 0xd6a7a6a0
	.long	2779045063                      ; 0xa5a4dcc7
	;; [unrolled: 1-line block ×5, first 2 shown]
	.long	284169442                       ; 0x10f014e2
	.long	3233239196                      ; 0xc0b7509c
	.long	849544728                       ; 0x32a30618
	.long	4185567242                      ; 0xf97ab00a
	.long	657897796                       ; 0x2736b944
	.long	905886381                       ; 0x35febaad
	.long	2086953994                      ; 0x7c64640a
	.long	1219998053                      ; 0x48b7b165
	;; [unrolled: 1-line block ×6, first 2 shown]
	.long	943166064                       ; 0x38379270
	.long	202416031                       ; 0xc109f9f
	;; [unrolled: 1-line block ×4, first 2 shown]
	.long	1053737970                      ; 0x3ecec3f2
	.long	4238971908                      ; 0xfca99404
	;; [unrolled: 1-line block ×8, first 2 shown]
	.long	197451178                       ; 0xbc4ddaa
	.long	3653040124                      ; 0xd9bcf7fc
	.long	4162077327                      ; 0xf814428f
	.long	94688481                        ; 0x5a4d4e1
	.long	2315408645                      ; 0x8a025505
	.long	699968623                       ; 0x29b8ac6f
	.long	1071988392                      ; 0x3fe53ea8
	.long	2842562270                      ; 0xa96e0ede
	;; [unrolled: 1-line block ×4, first 2 shown]
	.long	266371152                       ; 0xfe08050
	.long	4214356293                      ; 0xfb31f945
	.long	755620309                       ; 0x2d09d9d5
	.long	2683523818                      ; 0x9ff352ea
	.long	1925020181                      ; 0x72bd7a15
	.long	574417318                       ; 0x223ce9a6
	.long	119162126                       ; 0x71a450e
	.long	3323621213                      ; 0xc61a6f5d
	.long	1168593559                      ; 0x45a75297
	;; [unrolled: 1-line block ×8, first 2 shown]
	.long	557257486                       ; 0x2137130e
	.long	638058809                       ; 0x26080139
	.long	66225918                        ; 0x3f286fe
	.long	740433434                       ; 0x2c221e1a
	.long	2631896730                      ; 0x9cdf8e9a
	.long	3937479909                      ; 0xeab12ce5
	.long	411228024                       ; 0x1882d778
	.long	522548622                       ; 0x1f25758e
	.long	4127240538                      ; 0xf600b15a
	.long	715875283                       ; 0x2aab63d3
	.long	2008704579                      ; 0x77ba6643
	.long	2246049355                      ; 0x85dffe4b
	.long	22190845                        ; 0x1529afd
	.long	1692532062                      ; 0x64e1fd5e
	.long	3586861289                      ; 0xd5cb28e9
	;; [unrolled: 1-line block ×4, first 2 shown]
	.long	610751818                       ; 0x2467554a
	.long	922306057                       ; 0x36f94609
	.long	2206084232                      ; 0x837e2c88
	.long	1621944575                      ; 0x60ace8ff
	.long	907181435                       ; 0x36127d7b
	.long	1771882567                      ; 0x699cc847
	.long	3555073644                      ; 0xd3e61e6c
	;; [unrolled: 1-line block ×4, first 2 shown]
	.long	940846326                       ; 0x38142cf6
	.long	149995790                       ; 0x8f0c10e
	.long	1798939042                      ; 0x6b39a1a2
	.long	714850057                       ; 0x2a9bbf09
	.long	2912426839                      ; 0xad981b57
	.long	3345560812                      ; 0xc76934ec
	;; [unrolled: 1-line block ×7, first 2 shown]
	.long	460813741                       ; 0x1b7775ad
	.long	2169159734                      ; 0x814ac036
	.long	1090530001                      ; 0x41002ad1
	.long	49523828                        ; 0x2f3ac74
	.long	510136795                       ; 0x1e6811db
	.long	2233313725                      ; 0x851da9bd
	.long	1046048857                      ; 0x3e597059
	.long	700202384                       ; 0x29bc3d90
	.long	926275751                       ; 0x3735d8a7
	.long	4104982908                      ; 0xf4ad117c
	.long	3910999868                      ; 0xe91d1f3c
	;; [unrolled: 1-line block ×3, first 2 shown]
	.long	492681420                       ; 0x1d5db8cc
	.long	3891914731                      ; 0xe7f9e7eb
	.long	956545470                       ; 0x3903b9be
	.long	115696875                       ; 0x6e564eb
	.long	2957144177                      ; 0xb0427071
	.long	77090391                        ; 0x4984e57
	.long	467732901                       ; 0x1be109a5
	.long	2599813105                      ; 0x9af5fff1
	.long	3888976883                      ; 0xe7cd13f3
	;; [unrolled: 1-line block ×11, first 2 shown]
	.long	725991171                       ; 0x2b45bf03
	.long	61376035                        ; 0x3a88623
	.long	381912667                       ; 0x16c3865b
	.long	3904514327                      ; 0xe8ba2917
	.long	40015731                        ; 0x2629773
	.long	4263210119                      ; 0xfe1b6c87
	.long	2876064791                      ; 0xab6d4417
	;; [unrolled: 1-line block ×11, first 2 shown]
	.long	410643191                       ; 0x1879eaf7
	.long	3246033194                      ; 0xc17a892a
	.long	2846558783                      ; 0xa9ab0a3f
	.long	828879673                       ; 0x3167b339
	.long	2428687670                      ; 0x90c2d536
	.long	389617242                       ; 0x1739165a
	.long	63987225                        ; 0x3d05e19
	.long	439842832                       ; 0x1a377810
	.long	2635895570                      ; 0x9d1c9312
	.long	3468152776                      ; 0xceb7cfc8
	;; [unrolled: 1-line block ×17, first 2 shown]
	.long	832995451                       ; 0x31a6807b
	.long	2143875746                      ; 0x7fc8f2a2
	.long	1031309981                      ; 0x3d788a9d
	;; [unrolled: 1-line block ×4, first 2 shown]
	.long	805236091                       ; 0x2ffeed7b
	.long	666141116                       ; 0x27b481bc
	.long	2749351381                      ; 0xa3dfc5d5
	.long	53998350                        ; 0x337f30e
	.long	2270447972                      ; 0x87544964
	.long	2092784991                      ; 0x7cbd5d5f
	.long	877961283                       ; 0x3454a043
	.long	3019419608                      ; 0xb3f8afd8
	.long	2438459472                      ; 0x9157f050
	;; [unrolled: 1-line block ×3, first 2 shown]
	.long	332279281                       ; 0x13ce2df1
	.long	3759993687                      ; 0xe01cf357
	.long	2465113760                      ; 0x92eea6a0
	;; [unrolled: 1-line block ×3, first 2 shown]
	.long	322823266                       ; 0x133de462
	.long	491053374                       ; 0x1d44e13e
	;; [unrolled: 1-line block ×3, first 2 shown]
	.long	4192648122                      ; 0xf9e6bbba
	.long	4118497267                      ; 0xf57b47f3
	;; [unrolled: 1-line block ×3, first 2 shown]
	.long	988375775                       ; 0x3ae96adf
	.long	2098328675                      ; 0x7d11f463
	.long	3107501958                      ; 0xb938b786
	;; [unrolled: 1-line block ×4, first 2 shown]
	.long	6179961                         ; 0x5e4c79
	.long	188209161                       ; 0xb37d809
	.long	1491245003                      ; 0x58e297cb
	.long	3005972885                      ; 0xb32b8195
	;; [unrolled: 1-line block ×7, first 2 shown]
	.long	817350318                       ; 0x30b7c6ae
	.long	3372322557                      ; 0xc9018efd
	.long	1525295885                      ; 0x5aea2b0d
	.long	490587460                       ; 0x1d3dc544
	.long	3634834949                      ; 0xd8a72e05
	.long	2584809384                      ; 0x9a110fa8
	;; [unrolled: 1-line block ×7, first 2 shown]
	.long	248332433                       ; 0xecd4091
	.long	3654752967                      ; 0xd9d71ac7
	.long	27201989                        ; 0x19f11c5
	.long	3994156272                      ; 0xee11fcf0
	.long	5505477                         ; 0x5401c5
	.long	4260955724                      ; 0xfdf9064c
	.long	1175998822                      ; 0x46185166
	;; [unrolled: 1-line block ×3, first 2 shown]
	.long	866875674                       ; 0x33ab791a
	.long	3569324422                      ; 0xd4bf9186
	.long	202962714                       ; 0xc18f71a
	.long	896177244                       ; 0x356a945c
	.long	3146417201                      ; 0xbb8a8431
	.long	1168925859                      ; 0x45ac64a3
	;; [unrolled: 1-line block ×3, first 2 shown]
	.long	105395449                       ; 0x64834f9
	.long	2567482935                      ; 0x9908ae37
	.long	1301265751                      ; 0x4d8fbd57
	;; [unrolled: 1-line block ×20, first 2 shown]
	.long	21773193                        ; 0x14c3b89
	.long	1665317870                      ; 0x6342bbee
	.long	3116384869                      ; 0xb9c04265
	.long	3231689469                      ; 0xc09faafd
	.long	3689471824                      ; 0xdbe8df50
	.long	1520574310                      ; 0x5aa21f66
	.long	463615415                       ; 0x1ba235b7
	.long	2647200400                      ; 0x9dc91290
	.long	1592194261                      ; 0x5ee6f4d5
	;; [unrolled: 1-line block ×18, first 2 shown]
	.long	192141900                       ; 0xb73da4c
	.long	3861696664                      ; 0xe62cd098
	.long	2677929258                      ; 0x9f9df52a
	;; [unrolled: 1-line block ×6, first 2 shown]
	.long	298794036                       ; 0x11cf3c34
	.long	957896625                       ; 0x391857b1
	.long	2606719899                      ; 0x9b5f639b
	.long	3699219026                      ; 0xdc7d9a52
	;; [unrolled: 1-line block ×14, first 2 shown]
	.long	47671552                        ; 0x2d76900
	.long	2993859190                      ; 0xb272aa76
	.long	1269153270                      ; 0x4ba5bdf6
	;; [unrolled: 1-line block ×6, first 2 shown]
	.long	252769449                       ; 0xf10f4a9
	.long	1583335064                      ; 0x5e5fc698
	.long	2560819344                      ; 0x98a30090
	.long	52639671                        ; 0x32337b7
	.long	39618615                        ; 0x25c8837
	.long	313192112                       ; 0x12aaeeb0
	.long	2625914283                      ; 0x9c8445ab
	.long	2964928555                      ; 0xb0b9382b
	;; [unrolled: 1-line block ×4, first 2 shown]
	.long	183405146                       ; 0xaee8a5a
	.long	1455378225                      ; 0x56bf4f31
	.long	2994063945                      ; 0xb275ca49
	;; [unrolled: 1-line block ×4, first 2 shown]
	.long	368634554                       ; 0x15f8eaba
	.long	4110058153                      ; 0xf4fa82a9
	.long	1156556441                      ; 0x44efa699
	;; [unrolled: 1-line block ×3, first 2 shown]
	.long	906928962                       ; 0x360ea342
	.long	3773042217                      ; 0xe0e40e29
	.long	948650679                       ; 0x388b42b7
	.long	4134172918                      ; 0xf66a78f6
	.long	2922802573                      ; 0xae366d8d
	;; [unrolled: 1-line block ×3, first 2 shown]
	.long	291400676                       ; 0x115e6be4
	.long	3120733115                      ; 0xba029bbb
	.long	3225369425                      ; 0xc03f3b51
	;; [unrolled: 1-line block ×5, first 2 shown]
	.long	914727455                       ; 0x3685a21f
	.long	1927023103                      ; 0x72dc09ff
	.long	572959294                       ; 0x2226aa3e
	.long	3447057855                      ; 0xcd75edbf
	.long	4042691162                      ; 0xf0f6925a
	.long	840021910                       ; 0x3211b796
	.long	4187195325                      ; 0xf99387bd
	.long	3627831667                      ; 0xd83c5173
	;; [unrolled: 1-line block ×3, first 2 shown]
	.long	242673485                       ; 0xe76e74d
	.long	3330397756                      ; 0xc681d63c
	.long	776552069                       ; 0x2e493e85
	.long	684550924                       ; 0x28cd6b0c
	.long	261597601                       ; 0xf97a9a1
	.long	1857936262                      ; 0x6ebddb86
	.long	1022869402                      ; 0x3cf7bf9a
	;; [unrolled: 1-line block ×3, first 2 shown]
	.long	14248159                        ; 0xd968df
	.long	2366156245                      ; 0x8d08add5
	.long	1910356465                      ; 0x71ddb9f1
	;; [unrolled: 1-line block ×3, first 2 shown]
	.long	873419743                       ; 0x340f53df
	.long	4290775093                      ; 0xffc00835
	.long	3670978210                      ; 0xdaceaea2
	;; [unrolled: 1-line block ×3, first 2 shown]
	.long	784115717                       ; 0x2ebca805
	.long	3574834402                      ; 0xd513a4e2
	.long	357805142                       ; 0x1553ac56
	.long	3820795621                      ; 0xe3bcb6e5
	.long	1854247318                      ; 0x6e859196
	;; [unrolled: 1-line block ×18, first 2 shown]
	.long	184003599                       ; 0xaf7ac0f
	.long	3319252632                      ; 0xc5d7c698
	.long	1370913077                      ; 0x51b67935
	.long	940955681                       ; 0x3815d821
	.long	2244100002                      ; 0x85c23fa2
	.long	3683661822                      ; 0xdb9037fe
	.long	3215832318                      ; 0xbfadb4fe
	.long	3463899341                      ; 0xce76e8cd
	.long	134577035                       ; 0x8057b8b
	.long	3404365179                      ; 0xcaea7d7b
	.long	2262494389                      ; 0x86daecb5
	.long	88039196                        ; 0x53f5f1c
	.long	114405083                       ; 0x6d1aedb
	.long	1071449574                      ; 0x3fdd05e6
	.long	4008494055                      ; 0xeeecc3e7
	.long	765981248                       ; 0x2da7f240
	.long	758357266                       ; 0x2d339d12
	.long	2564125377                      ; 0x98d572c1
	.long	901977407                       ; 0x35c3153f
	.long	955156196                       ; 0x38ee86e4
	.long	3900980822                      ; 0xe8843e56
	.long	134031448                       ; 0x7fd2858
	.long	2566915950                      ; 0x9900076e
	.long	3445833537                      ; 0xcd633f41
	;; [unrolled: 1-line block ×4, first 2 shown]
	.long	713587277                       ; 0x2a887a4d
	.long	3396078039                      ; 0xca6c09d7
	.long	3987657193                      ; 0xedaed1e9
	;; [unrolled: 1-line block ×3, first 2 shown]
	.long	800324742                       ; 0x2fb3fc86
	.long	652529813                       ; 0x26e4d095
	.long	3999083342                      ; 0xee5d2b4e
	.long	486108562                       ; 0x1cf96d92
	.long	2103591900                      ; 0x7d6243dc
	.long	104743736                       ; 0x63e4338
	.long	2647200400                      ; 0x9dc91290
	.long	1592194261                      ; 0x5ee6f4d5
	.long	1289872755                      ; 0x4ce1e573
	;; [unrolled: 1-line block ×3, first 2 shown]
	.long	552781204                       ; 0x20f2c594
	.long	1101851783                      ; 0x41acec87
	.long	3373292799                      ; 0xc9105cff
	;; [unrolled: 1-line block ×9, first 2 shown]
	.long	942360591                       ; 0x382b480f
	.long	3885758458                      ; 0xe79bf7fa
	.long	2062812458                      ; 0x7af4052a
	;; [unrolled: 1-line block ×3, first 2 shown]
	.long	192141900                       ; 0xb73da4c
	.long	1909229999                      ; 0x71cc89af
	.long	2677929258                      ; 0x9f9df52a
	;; [unrolled: 1-line block ×6, first 2 shown]
	.long	298794036                       ; 0x11cf3c34
	.long	957896625                       ; 0x391857b1
	.long	2606719899                      ; 0x9b5f639b
	.long	3699219026                      ; 0xdc7d9a52
	;; [unrolled: 1-line block ×14, first 2 shown]
	.long	47671552                        ; 0x2d76900
	.long	2993859190                      ; 0xb272aa76
	.long	1269153270                      ; 0x4ba5bdf6
	;; [unrolled: 1-line block ×6, first 2 shown]
	.long	252769449                       ; 0xf10f4a9
	.long	2959496542                      ; 0xb066555e
	.long	2560819344                      ; 0x98a30090
	.long	52639671                        ; 0x32337b7
	.long	39618615                        ; 0x25c8837
	.long	313192112                       ; 0x12aaeeb0
	.long	2367743540                      ; 0x8d20e634
	.long	2964928555                      ; 0xb0b9382b
	;; [unrolled: 1-line block ×4, first 2 shown]
	.long	183405146                       ; 0xaee8a5a
	.long	2006751422                      ; 0x779c98be
	.long	2994063945                      ; 0xb275ca49
	;; [unrolled: 1-line block ×4, first 2 shown]
	.long	368634554                       ; 0x15f8eaba
	.long	1529794973                      ; 0x5b2ed19d
	.long	1156556441                      ; 0x44efa699
	.long	3690317172                      ; 0xdbf5c574
	.long	906928962                       ; 0x360ea342
	.long	3773042217                      ; 0xe0e40e29
	.long	2005599428                      ; 0x778b04c4
	;; [unrolled: 1-line block ×5, first 2 shown]
	.long	291400676                       ; 0x115e6be4
	.long	2664982078                      ; 0x9ed8663e
	.long	3225369425                      ; 0xc03f3b51
	;; [unrolled: 1-line block ×7, first 2 shown]
	.long	572959294                       ; 0x2226aa3e
	.long	3447057855                      ; 0xcd75edbf
	.long	4042691162                      ; 0xf0f6925a
	;; [unrolled: 1-line block ×6, first 2 shown]
	.long	242673485                       ; 0xe76e74d
	.long	1978730938                      ; 0x75f109ba
	.long	776552069                       ; 0x2e493e85
	.long	684550924                       ; 0x28cd6b0c
	;; [unrolled: 1-line block ×3, first 2 shown]
	.long	1857936262                      ; 0x6ebddb86
	.long	3273582958                      ; 0xc31ee96e
	;; [unrolled: 1-line block ×3, first 2 shown]
	.long	14248159                        ; 0xd968df
	.long	2366156245                      ; 0x8d08add5
	.long	1910356465                      ; 0x71ddb9f1
	.long	457933823                       ; 0x1b4b83ff
	.long	873419743                       ; 0x340f53df
	.long	4290775093                      ; 0xffc00835
	.long	3670978210                      ; 0xdaceaea2
	;; [unrolled: 1-line block ×5, first 2 shown]
	.long	357805142                       ; 0x1553ac56
	.long	3820795621                      ; 0xe3bcb6e5
	.long	1854247318                      ; 0x6e859196
	;; [unrolled: 1-line block ×18, first 2 shown]
	.long	184003599                       ; 0xaf7ac0f
	.long	3319252632                      ; 0xc5d7c698
	.long	1370913077                      ; 0x51b67935
	.long	940955681                       ; 0x3815d821
	.long	4262675711                      ; 0xfe1344ff
	.long	3683661822                      ; 0xdb9037fe
	;; [unrolled: 1-line block ×4, first 2 shown]
	.long	134577035                       ; 0x8057b8b
	.long	3494669542                      ; 0xd04c6ce6
	.long	2262494389                      ; 0x86daecb5
	.long	88039196                        ; 0x53f5f1c
	.long	114405083                       ; 0x6d1aedb
	.long	1071449574                      ; 0x3fdd05e6
	.long	1060831201                      ; 0x3f3affe1
	.long	765981248                       ; 0x2da7f240
	.long	758357266                       ; 0x2d339d12
	.long	2564125377                      ; 0x98d572c1
	.long	901977407                       ; 0x35c3153f
	.long	3003279383                      ; 0xb3026817
	.long	3900980822                      ; 0xe8843e56
	.long	134031448                       ; 0x7fd2858
	.long	2566915950                      ; 0x9900076e
	.long	3445833537                      ; 0xcd633f41
	;; [unrolled: 1-line block ×4, first 2 shown]
	.long	713587277                       ; 0x2a887a4d
	.long	3396078039                      ; 0xca6c09d7
	.long	3987657193                      ; 0xedaed1e9
	.long	2067196130                      ; 0x7b36e8e2
	.long	800324742                       ; 0x2fb3fc86
	.long	652529813                       ; 0x26e4d095
	.long	3999083342                      ; 0xee5d2b4e
	.long	486108562                       ; 0x1cf96d92
	.long	2321935002                      ; 0x8a65ea9a
	;; [unrolled: 2-line block ×3, first 2 shown]
	.long	1592194261                      ; 0x5ee6f4d5
	.long	1289872755                      ; 0x4ce1e573
	.long	466892855                       ; 0x1bd43837
	.long	552781204                       ; 0x20f2c594
	.long	1101851783                      ; 0x41acec87
	.long	3373292799                      ; 0xc9105cff
	;; [unrolled: 1-line block ×9, first 2 shown]
	.long	942360591                       ; 0x382b480f
	.long	3885758458                      ; 0xe79bf7fa
	.long	2062812458                      ; 0x7af4052a
	;; [unrolled: 1-line block ×10, first 2 shown]
	.long	298794036                       ; 0x11cf3c34
	.long	957896625                       ; 0x391857b1
	.long	2606719899                      ; 0x9b5f639b
	.long	675602173                       ; 0x2844defd
	.long	2447513005                      ; 0x91e215ad
	.long	2531109351                      ; 0x96dda9e7
	;; [unrolled: 1-line block ×12, first 2 shown]
	.long	47671552                        ; 0x2d76900
	.long	2993859190                      ; 0xb272aa76
	.long	2821422976                      ; 0xa82b7f80
	;; [unrolled: 1-line block ×9, first 2 shown]
	.long	52639671                        ; 0x32337b7
	.long	39618615                        ; 0x25c8837
	.long	2817859210                      ; 0xa7f51e8a
	.long	2367743540                      ; 0x8d20e634
	;; [unrolled: 1-line block ×14, first 2 shown]
	.long	906928962                       ; 0x360ea342
	.long	97899274                        ; 0x5d5d30a
	.long	2005599428                      ; 0x778b04c4
	.long	4134172918                      ; 0xf66a78f6
	;; [unrolled: 1-line block ×12, first 2 shown]
	.long	572959294                       ; 0x2226aa3e
	.long	3447057855                      ; 0xcd75edbf
	.long	1036984002                      ; 0x3dcf1ec2
	;; [unrolled: 1-line block ×8, first 2 shown]
	.long	776552069                       ; 0x2e493e85
	.long	684550924                       ; 0x28cd6b0c
	;; [unrolled: 1-line block ×3, first 2 shown]
	.long	3493571621                      ; 0xd03bac25
	.long	3273582958                      ; 0xc31ee96e
	;; [unrolled: 1-line block ×3, first 2 shown]
	.long	14248159                        ; 0xd968df
	.long	2366156245                      ; 0x8d08add5
	.long	211745521                       ; 0xc9efaf1
	.long	457933823                       ; 0x1b4b83ff
	;; [unrolled: 1-line block ×3, first 2 shown]
	.long	4290775093                      ; 0xffc00835
	.long	3670978210                      ; 0xdaceaea2
	;; [unrolled: 1-line block ×5, first 2 shown]
	.long	357805142                       ; 0x1553ac56
	.long	3820795621                      ; 0xe3bcb6e5
	.long	1911700755                      ; 0x71f23d13
	;; [unrolled: 1-line block ×6, first 2 shown]
	.long	213019511                       ; 0xcb26b77
	.long	2411291453                      ; 0x8fb9633d
	.long	1392810771                      ; 0x53049b13
	;; [unrolled: 1-line block ×4, first 2 shown]
	.long	237536256                       ; 0xe288400
	.long	3719529323                      ; 0xddb3836b
	.long	2106191537                      ; 0x7d89eeb1
	;; [unrolled: 1-line block ×4, first 2 shown]
	.long	665423205                       ; 0x27a98d65
	.long	3702357099                      ; 0xdcad7c6b
	.long	184003599                       ; 0xaf7ac0f
	.long	3319252632                      ; 0xc5d7c698
	.long	1370913077                      ; 0x51b67935
	;; [unrolled: 1-line block ×10, first 2 shown]
	.long	88039196                        ; 0x53f5f1c
	.long	114405083                       ; 0x6d1aedb
	.long	3580272354                      ; 0xd5669ee2
	.long	1060831201                      ; 0x3f3affe1
	.long	765981248                       ; 0x2da7f240
	.long	758357266                       ; 0x2d339d12
	.long	2564125377                      ; 0x98d572c1
	.long	2592170747                      ; 0x9a8162fb
	;; [unrolled: 1-line block ×4, first 2 shown]
	.long	134031448                       ; 0x7fd2858
	.long	2566915950                      ; 0x9900076e
	.long	1722483656                      ; 0x66ab03c8
	.long	2846863035                      ; 0xa9afaebb
	.long	2113076217                      ; 0x7df2fbf9
	.long	713587277                       ; 0x2a887a4d
	.long	3396078039                      ; 0xca6c09d7
	.long	244197359                       ; 0xe8e27ef
	.long	2067196130                      ; 0x7b36e8e2
	.long	800324742                       ; 0x2fb3fc86
	.long	652529813                       ; 0x26e4d095
	.long	3999083342                      ; 0xee5d2b4e
	.long	2310369213                      ; 0x89b56fbd
	.long	2321935002                      ; 0x8a65ea9a
	.long	104743736                       ; 0x63e4338
	.long	2647200400                      ; 0x9dc91290
	.long	1592194261                      ; 0x5ee6f4d5
	;; [unrolled: 1-line block ×3, first 2 shown]
	.long	466892855                       ; 0x1bd43837
	.long	552781204                       ; 0x20f2c594
	.long	1101851783                      ; 0x41acec87
	.long	3373292799                      ; 0xc9105cff
	;; [unrolled: 1-line block ×7, first 2 shown]
	.long	808483717                       ; 0x30307b85
	.long	1710937426                      ; 0x65fad552
	.long	942360591                       ; 0x382b480f
	.long	3885758458                      ; 0xe79bf7fa
	.long	2062812458                      ; 0x7af4052a
	;; [unrolled: 1-line block ×7, first 2 shown]
	.long	341113837                       ; 0x1454fbed
	.long	1103324742                      ; 0x41c36646
	.long	2995805883                      ; 0xb2905ebb
	.long	298794036                       ; 0x11cf3c34
	.long	957896625                       ; 0x391857b1
	.long	2309730124                      ; 0x89abaf4c
	.long	675602173                       ; 0x2844defd
	.long	2447513005                      ; 0x91e215ad
	.long	2531109351                      ; 0x96dda9e7
	;; [unrolled: 1-line block ×12, first 2 shown]
	.long	47671552                        ; 0x2d76900
	.long	2787057737                      ; 0xa61f2049
	.long	2821422976                      ; 0xa82b7f80
	;; [unrolled: 1-line block ×5, first 2 shown]
	.long	339095616                       ; 0x14363040
	.long	3665277070                      ; 0xda77b08e
	.long	2959496542                      ; 0xb066555e
	;; [unrolled: 1-line block ×3, first 2 shown]
	.long	52639671                        ; 0x32337b7
	.long	3200765881                      ; 0xbec7cfb9
	.long	2817859210                      ; 0xa7f51e8a
	.long	2367743540                      ; 0x8d20e634
	.long	2964928555                      ; 0xb0b9382b
	.long	4226359627                      ; 0xfbe9214b
	.long	3206913703                      ; 0xbf259ea7
	.long	2856219617                      ; 0xaa3e73e1
	.long	2006751422                      ; 0x779c98be
	.long	2994063945                      ; 0xb275ca49
	.long	3146629795                      ; 0xbb8dc2a3
	.long	1042016834                      ; 0x3e1bea42
	.long	3176479073                      ; 0xbd553961
	.long	1529794973                      ; 0x5b2ed19d
	.long	1156556441                      ; 0x44efa699
	.long	3690317172                      ; 0xdbf5c574
	.long	171871257                       ; 0xa3e8c19
	.long	97899274                        ; 0x5d5d30a
	.long	2005599428                      ; 0x778b04c4
	.long	4134172918                      ; 0xf66a78f6
	;; [unrolled: 1-line block ×12, first 2 shown]
	.long	572959294                       ; 0x2226aa3e
	.long	319456586                       ; 0x130a854a
	.long	1036984002                      ; 0x3dcf1ec2
	.long	3510199782                      ; 0xd13965e6
	;; [unrolled: 1-line block ×7, first 2 shown]
	.long	776552069                       ; 0x2e493e85
	.long	684550924                       ; 0x28cd6b0c
	.long	2862336749                      ; 0xaa9bcaed
	.long	3493571621                      ; 0xd03bac25
	;; [unrolled: 1-line block ×4, first 2 shown]
	.long	14248159                        ; 0xd968df
	.long	1597498830                      ; 0x5f37e5ce
	.long	211745521                       ; 0xc9efaf1
	.long	457933823                       ; 0x1b4b83ff
	;; [unrolled: 1-line block ×3, first 2 shown]
	.long	4290775093                      ; 0xffc00835
	.long	2990300609                      ; 0xb23c5dc1
	;; [unrolled: 1-line block ×5, first 2 shown]
	.long	357805142                       ; 0x1553ac56
	.long	1957211849                      ; 0x74a8aec9
	.long	1911700755                      ; 0x71f23d13
	;; [unrolled: 1-line block ×6, first 2 shown]
	.long	213019511                       ; 0xcb26b77
	.long	2411291453                      ; 0x8fb9633d
	.long	1392810771                      ; 0x53049b13
	;; [unrolled: 1-line block ×4, first 2 shown]
	.long	237536256                       ; 0xe288400
	.long	3719529323                      ; 0xddb3836b
	.long	2106191537                      ; 0x7d89eeb1
	;; [unrolled: 1-line block ×4, first 2 shown]
	.long	665423205                       ; 0x27a98d65
	.long	3702357099                      ; 0xdcad7c6b
	.long	184003599                       ; 0xaf7ac0f
	.long	3319252632                      ; 0xc5d7c698
	.long	1632983188                      ; 0x61555894
	;; [unrolled: 1-line block ×10, first 2 shown]
	.long	88039196                        ; 0x53f5f1c
	.long	677218369                       ; 0x285d8841
	.long	3580272354                      ; 0xd5669ee2
	.long	1060831201                      ; 0x3f3affe1
	.long	765981248                       ; 0x2da7f240
	.long	758357266                       ; 0x2d339d12
	.long	1277026792                      ; 0x4c1de1e8
	.long	2592170747                      ; 0x9a8162fb
	;; [unrolled: 1-line block ×4, first 2 shown]
	.long	134031448                       ; 0x7fd2858
	.long	4189207981                      ; 0xf9b23dad
	.long	1722483656                      ; 0x66ab03c8
	;; [unrolled: 1-line block ×4, first 2 shown]
	.long	713587277                       ; 0x2a887a4d
	.long	2098603934                      ; 0x7d16279e
	.long	244197359                       ; 0xe8e27ef
	.long	2067196130                      ; 0x7b36e8e2
	.long	800324742                       ; 0x2fb3fc86
	.long	652529813                       ; 0x26e4d095
	.long	1307843279                      ; 0x4df41acf
	.long	3205610699                      ; 0xbf11bccb
	;; [unrolled: 1-line block ×5, first 2 shown]
	.long	320007706                       ; 0x1312ee1a
	.long	4092615096                      ; 0xf3f059b8
	.long	608085660                       ; 0x243ea69c
	.long	1869480444                      ; 0x6f6e01fc
	;; [unrolled: 2-line block ×3, first 2 shown]
	.long	1944540526                      ; 0x73e7556e
	.long	2184854884                      ; 0x823a3d64
	;; [unrolled: 1-line block ×17, first 2 shown]
	.long	899469644                       ; 0x359cd14c
	.long	1149853995                      ; 0x4489612b
	.long	903917909                       ; 0x35e0b155
	.long	1185042552                      ; 0x46a25078
	;; [unrolled: 2-line block ×4, first 2 shown]
	.long	1237721838                      ; 0x49c622ee
	.long	3636618157                      ; 0xd8c263ad
	.long	3191931082                      ; 0xbe4100ca
	.long	2430339315                      ; 0x90dc08f3
	.long	3551966793                      ; 0xd3b6b649
	.long	1533877057                      ; 0x5b6d1b41
	.long	1700891210                      ; 0x65618a4a
	.long	3317627852                      ; 0xc5befbcc
	.long	828148584                       ; 0x315c8b68
	.long	1733460943                      ; 0x675283cf
	.long	3866870689                      ; 0xe67bc3a1
	;; [unrolled: 1-line block ×14, first 2 shown]
	.long	842064167                       ; 0x3230e127
	.long	729587893                       ; 0x2b7ca0b5
	.long	2949702260                      ; 0xafd0e274
	.long	2099637920                      ; 0x7d25eea0
	.long	260436310                       ; 0xf85f156
	.long	1056109549                      ; 0x3ef2f3ed
	.long	657874983                       ; 0x27366027
	.long	2734575906                      ; 0xa2fe5122
	.long	4088958435                      ; 0xf3b88de3
	;; [unrolled: 1-line block ×8, first 2 shown]
	.long	49944924                        ; 0x2fa195c
	.long	955114665                       ; 0x38ede4a9
	.long	2844328062                      ; 0xa989007e
	.long	885136505                       ; 0x34c21c79
	.long	4262681333                      ; 0xfe135af5
	.long	977883895                       ; 0x3a4952f7
	.long	998890598                       ; 0x3b89dc66
	.long	2026602293                      ; 0x78cb7f35
	.long	87852872                        ; 0x53c8748
	.long	2197997810                      ; 0x8302c8f2
	.long	910583259                       ; 0x364665db
	.long	3151223623                      ; 0xbbd3db47
	.long	3960726944                      ; 0xec13e5a0
	.long	1778982325                      ; 0x6a091db5
	.long	3322631234                      ; 0xc60b5442
	.long	2940402694                      ; 0xaf42fc06
	.long	1619768059                      ; 0x608bb2fb
	.long	1592832128                      ; 0x5ef0b080
	.long	1434542537                      ; 0x558161c9
	.long	2107314297                      ; 0x7d9b1079
	.long	1170789408                      ; 0x45c8d420
	.long	3357335254                      ; 0xc81cded6
	.long	3317662644                      ; 0xc5bf83b4
	.long	1409884338                      ; 0x540920b2
	.long	73741139                        ; 0x4653353
	.long	1093507243                      ; 0x412d98ab
	.long	329113525                       ; 0x139ddfb5
	.long	4199840577                      ; 0xfa547b41
	.long	442295615                       ; 0x1a5ce53f
	;; [unrolled: 2-line block ×3, first 2 shown]
	.long	1154137005                      ; 0x44cabbad
	.long	3151357655                      ; 0xbbd5e6d7
	;; [unrolled: 1-line block ×8, first 2 shown]
	.long	370866908                       ; 0x161afadc
	.long	4256943043                      ; 0xfdbbcbc3
	.long	2805503887                      ; 0xa738978f
	.long	1099763491                      ; 0x418d0f23
	.long	2473785999                      ; 0x9372fa8f
	.long	3215573143                      ; 0xbfa9c097
	.long	472701386                       ; 0x1c2cd9ca
	.long	3070116154                      ; 0xb6fe413a
	.long	3969279119                      ; 0xec96648f
	;; [unrolled: 1-line block ×13, first 2 shown]
	.long	112422529                       ; 0x6b36e81
	.long	1483304061                      ; 0x58696c7d
	.long	3712148969                      ; 0xdd42e5e9
	;; [unrolled: 1-line block ×6, first 2 shown]
	.long	208448216                       ; 0xc6caad8
	.long	607199897                       ; 0x24312299
	.long	4049058939                      ; 0xf157bc7b
	.long	3463267226                      ; 0xce6d439a
	;; [unrolled: 1-line block ×4, first 2 shown]
	.long	691151709                       ; 0x2932235d
	.long	3014869414                      ; 0xb3b341a6
	.long	11610545                        ; 0xb129b1
	.long	3895793639                      ; 0xe83517e7
	.long	3019679196                      ; 0xb3fca5dc
	;; [unrolled: 1-line block ×3, first 2 shown]
	.long	753245113                       ; 0x2ce59bb9
	.long	2236232962                      ; 0x854a3502
	.long	4172861179                      ; 0xf8b8cefb
	;; [unrolled: 1-line block ×7, first 2 shown]
	.long	930278208                       ; 0x3772eb40
	.long	223382535                       ; 0xd508c07
	;; [unrolled: 1-line block ×3, first 2 shown]
	.long	2613473585                      ; 0x9bc67131
	.long	4173439516                      ; 0xf8c1a21c
	;; [unrolled: 1-line block ×3, first 2 shown]
	.long	468054579                       ; 0x1be5f233
	.long	1141433627                      ; 0x4408e51b
	.long	1328639101                      ; 0x4f316c7d
	;; [unrolled: 1-line block ×4, first 2 shown]
	.long	892124224                       ; 0x352cbc40
	.long	2940688706                      ; 0xaf475942
	.long	2894552260                      ; 0xac875cc4
	;; [unrolled: 1-line block ×10, first 2 shown]
	.long	149922078                       ; 0x8efa11e
	.long	3860652874                      ; 0xe61ce34a
	.long	743952057                       ; 0x2c57ceb9
	.long	1024625539                      ; 0x3d128b83
	.long	3982786483                      ; 0xed647fb3
	;; [unrolled: 1-line block ×7, first 2 shown]
	.long	476371337                       ; 0x1c64d989
	.long	611803300                       ; 0x247760a4
	.long	3000092437                      ; 0xb2d1c715
	.long	57069608                        ; 0x366d028
	.long	1554852195                      ; 0x5cad2963
	.long	1406780525                      ; 0x53d9c46d
	;; [unrolled: 1-line block ×3, first 2 shown]
	.long	460131340                       ; 0x1b6d0c0c
	.long	3945168588                      ; 0xeb267ecc
	.long	18495216                        ; 0x11a36f0
	.long	547882902                       ; 0x20a80796
	.long	1624966119                      ; 0x60db03e7
	.long	2229423551                      ; 0x84e24dbf
	.long	1492565146                      ; 0x58f6bc9a
	.long	706052879                       ; 0x2a15830f
	.long	2733955743                      ; 0xa2f4da9f
	.long	1450476708                      ; 0x567484a4
	;; [unrolled: 1-line block ×4, first 2 shown]
	.long	850297175                       ; 0x32ae8157
	.long	331472128                       ; 0x13c1dd00
	.long	3275065709                      ; 0xc335896d
	.long	3154247398                      ; 0xbc01fee6
	;; [unrolled: 1-line block ×4, first 2 shown]
	.long	579449294                       ; 0x2289b1ce
	.long	4097747196                      ; 0xf43ea8fc
	.long	3572372000                      ; 0xd4ee1220
	;; [unrolled: 1-line block ×13, first 2 shown]
	.long	602097973                       ; 0x23e34935
	.long	2068619195                      ; 0x7b4c9fbb
	.long	2639336890                      ; 0x9d5115ba
	;; [unrolled: 1-line block ×4, first 2 shown]
	.long	809076686                       ; 0x303987ce
	.long	2892861850                      ; 0xac6d919a
	.long	4042078087                      ; 0xf0ed3787
	;; [unrolled: 1-line block ×3, first 2 shown]
	.long	706023882                       ; 0x2a1511ca
	.long	3236709493                      ; 0xc0ec4475
	.long	3603158102                      ; 0xd6c3d456
	;; [unrolled: 1-line block ×5, first 2 shown]
	.long	207296828                       ; 0xc5b193c
	.long	1561595438                      ; 0x5d140e2e
	.long	2961967115                      ; 0xb08c080b
	;; [unrolled: 1-line block ×3, first 2 shown]
	.long	835276604                       ; 0x31c94f3c
	.long	3005485731                      ; 0xb32412a3
	.long	58946395                        ; 0x383735b
	.long	3979071161                      ; 0xed2bceb9
	.long	1560535337                      ; 0x5d03e129
	;; [unrolled: 1-line block ×12, first 2 shown]
	.long	916308118                       ; 0x369dc096
	.long	4160016206                      ; 0xf7f4cf4e
	.long	3541795573                      ; 0xd31b82f5
	;; [unrolled: 1-line block ×11, first 2 shown]
	.long	917609614                       ; 0x36b19c8e
	.long	3731921025                      ; 0xde709881
	.long	1634893875                      ; 0x61728033
	;; [unrolled: 1-line block ×5, first 2 shown]
	.long	921166852                       ; 0x36e7e404
	.long	3525309936                      ; 0xd21ff5f0
	.long	633872502                       ; 0x25c82076
	.long	821930665                       ; 0x30fdaaa9
	.long	3861074060                      ; 0xe623508c
	.long	3309559821                      ; 0xc543e00d
	.long	304858441                       ; 0x122bc549
	.long	1530517912                      ; 0x5b39d998
	.long	1140212033                      ; 0x43f64141
	;; [unrolled: 1-line block ×10, first 2 shown]
	.long	387033391                       ; 0x1711a92f
	.long	1528180036                      ; 0x5b162d44
	.long	1561421035                      ; 0x5d1164eb
	;; [unrolled: 1-line block ×4, first 2 shown]
	.long	13543969                        ; 0xceaa21
	.long	3987997725                      ; 0xedb4041d
	.long	4273177532                      ; 0xfeb383bc
	;; [unrolled: 1-line block ×3, first 2 shown]
	.long	461920718                       ; 0x1b8859ce
	.long	459441276                       ; 0x1b62847c
	.long	4225054447                      ; 0xfbd536ef
	.long	2248193798                      ; 0x8600b706
	;; [unrolled: 1-line block ×10, first 2 shown]
	.long	930278208                       ; 0x3772eb40
	.long	223382535                       ; 0xd508c07
	;; [unrolled: 1-line block ×3, first 2 shown]
	.long	2613473585                      ; 0x9bc67131
	.long	4025056228                      ; 0xefe97be4
	;; [unrolled: 1-line block ×3, first 2 shown]
	.long	468054579                       ; 0x1be5f233
	.long	1141433627                      ; 0x4408e51b
	.long	1328639101                      ; 0x4f316c7d
	.long	304940359                       ; 0x122d0547
	.long	4023859457                      ; 0xefd73901
	.long	892124224                       ; 0x352cbc40
	.long	2940688706                      ; 0xaf475942
	.long	2894552260                      ; 0xac875cc4
	;; [unrolled: 1-line block ×10, first 2 shown]
	.long	149922078                       ; 0x8efa11e
	.long	3860652874                      ; 0xe61ce34a
	.long	2068299929                      ; 0x7b47c099
	;; [unrolled: 1-line block ×9, first 2 shown]
	.long	476371337                       ; 0x1c64d989
	.long	611803300                       ; 0x247760a4
	;; [unrolled: 1-line block ×3, first 2 shown]
	.long	57069608                        ; 0x366d028
	.long	1554852195                      ; 0x5cad2963
	.long	1406780525                      ; 0x53d9c46d
	;; [unrolled: 1-line block ×5, first 2 shown]
	.long	18495216                        ; 0x11a36f0
	.long	547882902                       ; 0x20a80796
	.long	1624966119                      ; 0x60db03e7
	.long	3049748661                      ; 0xb5c778b5
	.long	1492565146                      ; 0x58f6bc9a
	.long	706052879                       ; 0x2a15830f
	.long	2733955743                      ; 0xa2f4da9f
	.long	1450476708                      ; 0x567484a4
	.long	910808481                       ; 0x3649d5a1
	.long	2491601298                      ; 0x9482d192
	.long	850297175                       ; 0x32ae8157
	.long	331472128                       ; 0x13c1dd00
	.long	3275065709                      ; 0xc335896d
	.long	3877736250                      ; 0xe7218f3a
	;; [unrolled: 1-line block ×4, first 2 shown]
	.long	579449294                       ; 0x2289b1ce
	.long	4097747196                      ; 0xf43ea8fc
	.long	3029512053                      ; 0xb492af75
	.long	2712499116                      ; 0xa1ad73ac
	.long	1172861307                      ; 0x45e8717b
	.long	3964137156                      ; 0xec47eec4
	.long	1300564854                      ; 0x4d850b76
	.long	2398462790                      ; 0x8ef5a346
	.long	2785733262                      ; 0xa60aea8e
	.long	3548277076                      ; 0xd37e6954
	.long	2572944411                      ; 0x995c041b
	.long	3299232577                      ; 0xc4a64b41
	.long	3497485227                      ; 0xd07763ab
	.long	2468534978                      ; 0x9322dac2
	.long	602097973                       ; 0x23e34935
	.long	2068619195                      ; 0x7b4c9fbb
	.long	2639336890                      ; 0x9d5115ba
	;; [unrolled: 1-line block ×4, first 2 shown]
	.long	809076686                       ; 0x303987ce
	.long	2892861850                      ; 0xac6d919a
	.long	4042078087                      ; 0xf0ed3787
	;; [unrolled: 1-line block ×3, first 2 shown]
	.long	706023882                       ; 0x2a1511ca
	.long	3236709493                      ; 0xc0ec4475
	.long	3603158102                      ; 0xd6c3d456
	;; [unrolled: 1-line block ×3, first 2 shown]
	.long	591682100                       ; 0x23445a34
	.long	2492604085                      ; 0x94921eb5
	.long	207296828                       ; 0xc5b193c
	.long	1561595438                      ; 0x5d140e2e
	.long	2961967115                      ; 0xb08c080b
	;; [unrolled: 1-line block ×3, first 2 shown]
	.long	835276604                       ; 0x31c94f3c
	.long	3005485731                      ; 0xb32412a3
	.long	58946395                        ; 0x383735b
	.long	3979071161                      ; 0xed2bceb9
	.long	2784795951                      ; 0xa5fc9d2f
	;; [unrolled: 1-line block ×12, first 2 shown]
	.long	916308118                       ; 0x369dc096
	.long	4160016206                      ; 0xf7f4cf4e
	.long	3541795573                      ; 0xd31b82f5
	;; [unrolled: 1-line block ×11, first 2 shown]
	.long	917609614                       ; 0x36b19c8e
	.long	3731921025                      ; 0xde709881
	.long	2905712346                      ; 0xad31a6da
	;; [unrolled: 1-line block ×5, first 2 shown]
	.long	921166852                       ; 0x36e7e404
	.long	2881663141                      ; 0xabc2b0a5
	.long	633872502                       ; 0x25c82076
	.long	821930665                       ; 0x30fdaaa9
	.long	3861074060                      ; 0xe623508c
	.long	3309559821                      ; 0xc543e00d
	;; [unrolled: 1-line block ×13, first 2 shown]
	.long	387033391                       ; 0x1711a92f
	.long	1528180036                      ; 0x5b162d44
	.long	1561421035                      ; 0x5d1164eb
	;; [unrolled: 1-line block ×4, first 2 shown]
	.long	13543969                        ; 0xceaa21
	.long	3987997725                      ; 0xedb4041d
	.long	4273177532                      ; 0xfeb383bc
	;; [unrolled: 1-line block ×4, first 2 shown]
	.long	459441276                       ; 0x1b62847c
	.long	4225054447                      ; 0xfbd536ef
	.long	2248193798                      ; 0x8600b706
	;; [unrolled: 1-line block ×10, first 2 shown]
	.long	930278208                       ; 0x3772eb40
	.long	223382535                       ; 0xd508c07
	;; [unrolled: 1-line block ×3, first 2 shown]
	.long	4173186621                      ; 0xf8bdc63d
	.long	4025056228                      ; 0xefe97be4
	;; [unrolled: 1-line block ×3, first 2 shown]
	.long	468054579                       ; 0x1be5f233
	.long	1141433627                      ; 0x4408e51b
	.long	2396654717                      ; 0x8eda0c7d
	.long	304940359                       ; 0x122d0547
	.long	4023859457                      ; 0xefd73901
	.long	892124224                       ; 0x352cbc40
	.long	2940688706                      ; 0xaf475942
	.long	2903529759                      ; 0xad10591f
	;; [unrolled: 1-line block ×6, first 2 shown]
	.long	715931354                       ; 0x2aac3eda
	.long	3026555841                      ; 0xb46593c1
	.long	3171850455                      ; 0xbd0e98d7
	;; [unrolled: 1-line block ×3, first 2 shown]
	.long	149922078                       ; 0x8efa11e
	.long	3342675578                      ; 0xc73d2e7a
	.long	2068299929                      ; 0x7b47c099
	;; [unrolled: 1-line block ×9, first 2 shown]
	.long	476371337                       ; 0x1c64d989
	.long	2192872017                      ; 0x82b49251
	.long	259065762                       ; 0xf7107a2
	.long	57069608                        ; 0x366d028
	.long	1554852195                      ; 0x5cad2963
	.long	1406780525                      ; 0x53d9c46d
	;; [unrolled: 1-line block ×5, first 2 shown]
	.long	18495216                        ; 0x11a36f0
	.long	547882902                       ; 0x20a80796
	.long	2453072030                      ; 0x9236e89e
	.long	3049748661                      ; 0xb5c778b5
	;; [unrolled: 1-line block ×3, first 2 shown]
	.long	706052879                       ; 0x2a15830f
	.long	2733955743                      ; 0xa2f4da9f
	.long	2233423433                      ; 0x851f5649
	.long	910808481                       ; 0x3649d5a1
	.long	2491601298                      ; 0x9482d192
	.long	850297175                       ; 0x32ae8157
	.long	331472128                       ; 0x13c1dd00
	.long	1154483111                      ; 0x44d003a7
	.long	3877736250                      ; 0xe7218f3a
	;; [unrolled: 1-line block ×4, first 2 shown]
	.long	579449294                       ; 0x2289b1ce
	.long	690173400                       ; 0x292335d8
	.long	3029512053                      ; 0xb492af75
	.long	2712499116                      ; 0xa1ad73ac
	;; [unrolled: 1-line block ×12, first 2 shown]
	.long	602097973                       ; 0x23e34935
	.long	2068619195                      ; 0x7b4c9fbb
	.long	2711665545                      ; 0xa1a0bb89
	;; [unrolled: 1-line block ×4, first 2 shown]
	.long	809076686                       ; 0x303987ce
	.long	2892861850                      ; 0xac6d919a
	.long	3558962856                      ; 0xd42176a8
	;; [unrolled: 1-line block ×3, first 2 shown]
	.long	706023882                       ; 0x2a1511ca
	.long	3236709493                      ; 0xc0ec4475
	.long	3603158102                      ; 0xd6c3d456
	.long	274706518                       ; 0x105fb056
	.long	591682100                       ; 0x23445a34
	.long	2492604085                      ; 0x94921eb5
	.long	207296828                       ; 0xc5b193c
	.long	1561595438                      ; 0x5d140e2e
	.long	1532885415                      ; 0x5b5df9a7
	;; [unrolled: 1-line block ×3, first 2 shown]
	.long	835276604                       ; 0x31c94f3c
	.long	3005485731                      ; 0xb32412a3
	.long	58946395                        ; 0x383735b
	.long	4143205928                      ; 0xf6f44e28
	.long	2784795951                      ; 0xa5fc9d2f
	;; [unrolled: 1-line block ×12, first 2 shown]
	.long	916308118                       ; 0x369dc096
	.long	4160016206                      ; 0xf7f4cf4e
	.long	3541795573                      ; 0xd31b82f5
	;; [unrolled: 1-line block ×11, first 2 shown]
	.long	917609614                       ; 0x36b19c8e
	.long	4220503034                      ; 0xfb8fc3fa
	.long	2905712346                      ; 0xad31a6da
	;; [unrolled: 1-line block ×5, first 2 shown]
	.long	868453017                       ; 0x33c38a99
	.long	2881663141                      ; 0xabc2b0a5
	.long	633872502                       ; 0x25c82076
	.long	821930665                       ; 0x30fdaaa9
	.long	3861074060                      ; 0xe623508c
	.long	1928586970                      ; 0x72f3e6da
	;; [unrolled: 1-line block ×11, first 2 shown]
	.long	496773835                       ; 0x1d9c2acb
	.long	3974041178                      ; 0xecdf0e5a
	.long	387033391                       ; 0x1711a92f
	.long	1528180036                      ; 0x5b162d44
	.long	1561421035                      ; 0x5d1164eb
	;; [unrolled: 1-line block ×4, first 2 shown]
	.long	13543969                        ; 0xceaa21
	.long	3987997725                      ; 0xedb4041d
	.long	4273177532                      ; 0xfeb383bc
	;; [unrolled: 1-line block ×4, first 2 shown]
	.long	459441276                       ; 0x1b62847c
	.long	4225054447                      ; 0xfbd536ef
	.long	2248193798                      ; 0x8600b706
	.long	53021618                        ; 0x3290bb2
	.long	3889361594                      ; 0xe7d2f2ba
	.long	1844457031                      ; 0x6df02e47
	;; [unrolled: 1-line block ×7, first 2 shown]
	.long	930278208                       ; 0x3772eb40
	.long	223382535                       ; 0xd508c07
	.long	2159964170                      ; 0x80be700a
	.long	4173186621                      ; 0xf8bdc63d
	;; [unrolled: 1-line block ×4, first 2 shown]
	.long	468054579                       ; 0x1be5f233
	.long	1397544344                      ; 0x534cd598
	.long	2396654717                      ; 0x8eda0c7d
	.long	304940359                       ; 0x122d0547
	.long	4023859457                      ; 0xefd73901
	.long	892124224                       ; 0x352cbc40
	.long	2800429255                      ; 0xa6eb28c7
	.long	2903529759                      ; 0xad10591f
	;; [unrolled: 1-line block ×5, first 2 shown]
	.long	296054924                       ; 0x11a5708c
	.long	715931354                       ; 0x2aac3eda
	.long	3026555841                      ; 0xb46593c1
	.long	3171850455                      ; 0xbd0e98d7
	.long	3733161247                      ; 0xde83851f
	.long	863280930                       ; 0x33749f22
	.long	3342675578                      ; 0xc73d2e7a
	.long	2068299929                      ; 0x7b47c099
	;; [unrolled: 1-line block ×4, first 2 shown]
	.long	949122664                       ; 0x38927668
	.long	1157097180                      ; 0x44f7e6dc
	.long	2512419366                      ; 0x95c07a26
	;; [unrolled: 1-line block ×6, first 2 shown]
	.long	259065762                       ; 0xf7107a2
	.long	57069608                        ; 0x366d028
	.long	1554852195                      ; 0x5cad2963
	.long	3650462338                      ; 0xd995a282
	;; [unrolled: 1-line block ×5, first 2 shown]
	.long	18495216                        ; 0x11a36f0
	.long	524715648                       ; 0x1f468680
	.long	2453072030                      ; 0x9236e89e
	.long	3049748661                      ; 0xb5c778b5
	;; [unrolled: 1-line block ×3, first 2 shown]
	.long	706052879                       ; 0x2a15830f
	.long	123143857                       ; 0x75706b1
	.long	2233423433                      ; 0x851f5649
	.long	910808481                       ; 0x3649d5a1
	.long	2491601298                      ; 0x9482d192
	;; [unrolled: 2-line block ×3, first 2 shown]
	.long	1154483111                      ; 0x44d003a7
	.long	3877736250                      ; 0xe7218f3a
	;; [unrolled: 1-line block ×5, first 2 shown]
	.long	690173400                       ; 0x292335d8
	.long	3029512053                      ; 0xb492af75
	.long	2712499116                      ; 0xa1ad73ac
	;; [unrolled: 1-line block ×3, first 2 shown]
	.long	598335483                       ; 0x23a9dffb
	.long	2683130322                      ; 0x9fed51d2
	.long	2398462790                      ; 0x8ef5a346
	;; [unrolled: 1-line block ×4, first 2 shown]
	.long	678275336                       ; 0x286da908
	.long	4075824857                      ; 0xf2f026d9
	.long	3497485227                      ; 0xd07763ab
	;; [unrolled: 1-line block ×3, first 2 shown]
	.long	602097973                       ; 0x23e34935
	.long	1861912463                      ; 0x6efa878f
	.long	2711665545                      ; 0xa1a0bb89
	;; [unrolled: 1-line block ×4, first 2 shown]
	.long	809076686                       ; 0x303987ce
	.long	3324887617                      ; 0xc62dc241
	.long	3558962856                      ; 0xd42176a8
	;; [unrolled: 1-line block ×3, first 2 shown]
	.long	706023882                       ; 0x2a1511ca
	.long	3236709493                      ; 0xc0ec4475
	.long	1776103512                      ; 0x69dd3058
	.long	274706518                       ; 0x105fb056
	.long	591682100                       ; 0x23445a34
	.long	2492604085                      ; 0x94921eb5
	.long	207296828                       ; 0xc5b193c
	.long	1739697610                      ; 0x67b1adca
	.long	1532885415                      ; 0x5b5df9a7
	;; [unrolled: 1-line block ×3, first 2 shown]
	.long	835276604                       ; 0x31c94f3c
	.long	3005485731                      ; 0xb32412a3
	.long	2931144546                      ; 0xaeb5b762
	;; [unrolled: 1-line block ×14, first 2 shown]
	.long	916308118                       ; 0x369dc096
	.long	4160016206                      ; 0xf7f4cf4e
	.long	376029432                       ; 0x1669c0f8
	.long	1771535488                      ; 0x69977c80
	.long	3025355241                      ; 0xb45341e9
	;; [unrolled: 1-line block ×15, first 2 shown]
	.long	868453017                       ; 0x33c38a99
	.long	2881663141                      ; 0xabc2b0a5
	.long	633872502                       ; 0x25c82076
	.long	821930665                       ; 0x30fdaaa9
	.long	2579406681                      ; 0x99be9f59
	.long	1928586970                      ; 0x72f3e6da
	;; [unrolled: 1-line block ×11, first 2 shown]
	.long	496773835                       ; 0x1d9c2acb
	.long	3974041178                      ; 0xecdf0e5a
	.long	387033391                       ; 0x1711a92f
	.long	1528180036                      ; 0x5b162d44
	.long	2681142643                      ; 0x9fcefd73
	;; [unrolled: 1-line block ×4, first 2 shown]
	.long	13543969                        ; 0xceaa21
	.long	3987997725                      ; 0xedb4041d
	.long	2583502227                      ; 0x99fd1d93
	;; [unrolled: 1-line block ×4, first 2 shown]
	.long	459441276                       ; 0x1b62847c
	.long	4225054447                      ; 0xfbd536ef
	.long	177868402                       ; 0xa9a0e72
	.long	53021618                        ; 0x3290bb2
	.long	3889361594                      ; 0xe7d2f2ba
	.long	1844457031                      ; 0x6df02e47
	;; [unrolled: 1-line block ×4, first 2 shown]
	.long	240269378                       ; 0xe523842
	.long	689700242                       ; 0x291bfd92
	;; [unrolled: 1-line block ×3, first 2 shown]
	.long	1052178701                      ; 0x3eb6f90d
	.long	2154172820                      ; 0x80661194
	.long	614713903                       ; 0x24a3ca2f
	.long	3000863907                      ; 0xb2dd8ca3
	.long	3916962502                      ; 0xe9781ac6
	.long	94341217                        ; 0x59f8861
	.long	2609111975                      ; 0x9b83e3a7
	.long	1621831476                      ; 0x60ab2f34
	;; [unrolled: 1-line block ×3, first 2 shown]
	.long	694869580                       ; 0x296ade4c
	.long	1708268072                      ; 0x65d21a28
	.long	2751452128                      ; 0xa3ffd3e0
	.long	3843916827                      ; 0xe51d841b
	.long	3400387883                      ; 0xcaadcd2b
	.long	2394104046                      ; 0x8eb320ee
	.long	2348934617                      ; 0x8c01e5d9
	.long	3263438569                      ; 0xc2841ee9
	.long	3818556032                      ; 0xe39a8a80
	.long	1695621950                      ; 0x6511233e
	.long	410888855                       ; 0x187daa97
	.long	347231182                       ; 0x14b253ce
	;; [unrolled: 1-line block ×3, first 2 shown]
	.long	1858306225                      ; 0x6ec380b1
	.long	3024940417                      ; 0xb44ced81
	;; [unrolled: 1-line block ×5, first 2 shown]
	.long	329106327                       ; 0x139dc397
	.long	3333110741                      ; 0xc6ab3bd5
	.long	2742025573                      ; 0xa36ffd65
	;; [unrolled: 1-line block ×5, first 2 shown]
	.long	864130510                       ; 0x338195ce
	.long	2586839659                      ; 0x9a300a6b
	.long	662702978                       ; 0x27800b82
	.long	817620197                       ; 0x30bbe4e5
	.long	2888275812                      ; 0xac279764
	.long	3372817000                      ; 0xc9091a68
	;; [unrolled: 1-line block ×5, first 2 shown]
	.long	498221898                       ; 0x1db2434a
	.long	1559803796                      ; 0x5cf8b794
	.long	209509183                       ; 0xc7cdb3f
	.long	3004637012                      ; 0xb3171f54
	.long	2204871924                      ; 0x836bacf4
	;; [unrolled: 1-line block ×7, first 2 shown]
	.long	865408944                       ; 0x339517b0
	.long	2797639687                      ; 0xa6c09807
	.long	3201749441                      ; 0xbed6d1c1
	;; [unrolled: 1-line block ×13, first 2 shown]
	.long	368948443                       ; 0x15fdb4db
	.long	3839554625                      ; 0xe4daf441
	.long	2032663713                      ; 0x7927fca1
	;; [unrolled: 1-line block ×4, first 2 shown]
	.long	137321733                       ; 0x82f5d05
	.long	3515190288                      ; 0xd1858c10
	.long	4281845500                      ; 0xff37c6fc
	;; [unrolled: 1-line block ×7, first 2 shown]
	.long	12570320                        ; 0xbfced0
	.long	989306366                       ; 0x3af79dfe
	.long	2347610707                      ; 0x8bedb253
	.long	2849134988                      ; 0xa9d2598c
	;; [unrolled: 1-line block ×13, first 2 shown]
	.long	985812393                       ; 0x3ac24da9
	.long	1432182882                      ; 0x555d6062
	.long	3668977714                      ; 0xdab02832
	.long	231840487                       ; 0xdd19ae7
	.long	647229148                       ; 0x2693eedc
	;; [unrolled: 1-line block ×3, first 2 shown]
	.long	2856186783                      ; 0xaa3df39f
	.long	1273158535                      ; 0x4be2db87
	.long	900081267                       ; 0x35a62673
	.long	1566366419                      ; 0x5d5cdad3
	.long	562584841                       ; 0x21885d09
	.long	2247144789                      ; 0x85f0b555
	.long	3522587233                      ; 0xd1f66a61
	;; [unrolled: 1-line block ×3, first 2 shown]
	.long	586483076                       ; 0x22f50584
	.long	1207387616                      ; 0x47f745e0
	.long	3040778905                      ; 0xb53e9a99
	;; [unrolled: 1-line block ×18, first 2 shown]
	.long	790410752                       ; 0x2f1cb600
	.long	3511746957                      ; 0xd151018d
	.long	2277733721                      ; 0x87c37559
	;; [unrolled: 1-line block ×5, first 2 shown]
	.long	952943025                       ; 0x38ccc1b1
	.long	2987154266                      ; 0xb20c5b5a
	.long	120799539                       ; 0x7334133
	.long	2862346597                      ; 0xaa9bf165
	.long	3689389598                      ; 0xdbe79e1e
	;; [unrolled: 1-line block ×3, first 2 shown]
	.long	715438735                       ; 0x2aa4ba8f
	.long	1035277216                      ; 0x3db513a0
	.long	3079684809                      ; 0xb79042c9
	.long	677298106                       ; 0x285ebfba
	.long	2364292665                      ; 0x8cec3e39
	.long	4110165256                      ; 0xf4fc2508
	;; [unrolled: 1-line block ×3, first 2 shown]
	.long	356732100                       ; 0x15434cc4
	.long	2361282903                      ; 0x8cbe5157
	.long	4050817284                      ; 0xf1729104
	;; [unrolled: 1-line block ×7, first 2 shown]
	.long	503070461                       ; 0x1dfc3efd
	.long	1879838906                      ; 0x700c10ba
	.long	4117851084                      ; 0xf5716bcc
	;; [unrolled: 1-line block ×7, first 2 shown]
	.long	641404242                       ; 0x263b0d52
	.long	3414739418                      ; 0xcb88c9da
	.long	2602896978                      ; 0x9b250e52
	.long	672876430                       ; 0x281b478e
	.long	1998875331                      ; 0x77246ac3
	.long	1325970749                      ; 0x4f08b53d
	;; [unrolled: 1-line block ×5, first 2 shown]
	.long	95705225                        ; 0x5b45889
	.long	580635702                       ; 0x229bcc36
	.long	3543633503                      ; 0xd3378e5f
	.long	1469889369                      ; 0x579cbb59
	.long	239816045                       ; 0xe4b4d6d
	.long	2254984383                      ; 0x866854bf
	.long	1632695776                      ; 0x6150f5e0
	.long	2033839470                      ; 0x7939ed6e
	.long	4117902893                      ; 0xf572362d
	.long	509938588                       ; 0x1e650b9c
	.long	1291002316                      ; 0x4cf321cc
	.long	3600816069                      ; 0xd6a017c5
	.long	2962644092                      ; 0xb0965c7c
	.long	4269959520                      ; 0xfe826960
	.long	3161890066                      ; 0xbc769d12
	.long	1908855486                      ; 0x71c6d2be
	.long	1177948589                      ; 0x463611ad
	.long	473118979                       ; 0x1c333903
	.long	3205649854                      ; 0xbf1255be
	.long	2027137481                      ; 0x78d3a9c9
	.long	227656706                       ; 0xd91c402
	.long	1485922673                      ; 0x58916171
	.long	3380103860                      ; 0xc9784ab4
	;; [unrolled: 1-line block ×9, first 2 shown]
	.long	833779022                       ; 0x31b2754e
	.long	719369683                       ; 0x2ae0b5d3
	.long	3768029740                      ; 0xe097922c
	.long	1123855192                      ; 0x42fcab58
	;; [unrolled: 1-line block ×27, first 2 shown]
	.long	770150438                       ; 0x2de79026
	.long	2482504045                      ; 0x93f8016d
	.long	3916834400                      ; 0xe9762660
	.long	222960658                       ; 0xd4a1c12
	.long	342285296                       ; 0x1466dbf0
	.long	3354506276                      ; 0xc7f1b424
	.long	1371039946                      ; 0x51b868ca
	;; [unrolled: 1-line block ×12, first 2 shown]
	.long	338607286                       ; 0x142ebcb6
	.long	3262593182                      ; 0xc277389e
	.long	2413619772                      ; 0x8fdcea3c
	;; [unrolled: 1-line block ×6, first 2 shown]
	.long	447909575                       ; 0x1ab28ec7
	.long	4010548064                      ; 0xef0c1b60
	.long	282941857                       ; 0x10dd59a1
	.long	3418249797                      ; 0xcbbe5a45
	.long	3300699992                      ; 0xc4bcaf58
	.long	1957423733                      ; 0x74abea75
	.long	2615274674                      ; 0x9be1ecb2
	.long	370155667                       ; 0x16102093
	.long	1109991145                      ; 0x42291ee9
	.long	933065597                       ; 0x379d737d
	.long	3947818943                      ; 0xeb4eefbf
	.long	3221736239                      ; 0xc007cb2f
	.long	402503017                       ; 0x17fdb569
	.long	4016454981                      ; 0xef663d45
	;; [unrolled: 3-line block ×4, first 2 shown]
	.long	3471578165                      ; 0xceec1435
	.long	2735623932                      ; 0xa30e4efc
	.long	445067764                       ; 0x1a8731f4
	.long	2732367763                      ; 0xa2dc9f93
	.long	3225606514                      ; 0xc042d972
	;; [unrolled: 1-line block ×5, first 2 shown]
	.long	680726116                       ; 0x28930e64
	.long	3098695319                      ; 0xb8b25697
	.long	2103463364                      ; 0x7d604dc4
	;; [unrolled: 1-line block ×9, first 2 shown]
	.long	806148488                       ; 0x300cd988
	.long	197247918                       ; 0xbc1c3ae
	;; [unrolled: 1-line block ×4, first 2 shown]
	.long	4020619856                      ; 0xefa5ca50
	.long	3030619444                      ; 0xb4a39534
	.long	3242554868                      ; 0xc14575f4
	.long	282156707                       ; 0x10d15ea3
	.long	3718880754                      ; 0xdda99df2
	.long	2938924979                      ; 0xaf2c6fb3
	;; [unrolled: 1-line block ×12, first 2 shown]
	.long	342934950                       ; 0x1470c5a6
	.long	216040419                       ; 0xce083e3
	.long	3176519601                      ; 0xbd55d7b1
	.long	4151509434                      ; 0xf77301ba
	;; [unrolled: 1-line block ×7, first 2 shown]
	.long	14864453                        ; 0xe2d045
	.long	2272105738                      ; 0x876d950a
	.long	641404242                       ; 0x263b0d52
	.long	3414739418                      ; 0xcb88c9da
	.long	2602896978                      ; 0x9b250e52
	;; [unrolled: 1-line block ×7, first 2 shown]
	.long	428880410                       ; 0x1990321a
	.long	95705225                        ; 0x5b45889
	.long	580635702                       ; 0x229bcc36
	.long	3543633503                      ; 0xd3378e5f
	.long	1469889369                      ; 0x579cbb59
	;; [unrolled: 1-line block ×12, first 2 shown]
	.long	397442545                       ; 0x17b07df1
	.long	1908855486                      ; 0x71c6d2be
	.long	1177948589                      ; 0x463611ad
	.long	473118979                       ; 0x1c333903
	.long	3205649854                      ; 0xbf1255be
	.long	990384909                       ; 0x3b08130d
	.long	227656706                       ; 0xd91c402
	.long	1485922673                      ; 0x58916171
	.long	3380103860                      ; 0xc9784ab4
	;; [unrolled: 1-line block ×9, first 2 shown]
	.long	833779022                       ; 0x31b2754e
	.long	719369683                       ; 0x2ae0b5d3
	.long	3768029740                      ; 0xe097922c
	.long	1123855192                      ; 0x42fcab58
	.long	283414013                       ; 0x10e48dfd
	.long	3694463505                      ; 0xdc350a11
	.long	1137588651                      ; 0x43ce39ab
	;; [unrolled: 1-line block ×27, first 2 shown]
	.long	222960658                       ; 0xd4a1c12
	.long	342285296                       ; 0x1466dbf0
	.long	2406892654                      ; 0x8f76446e
	.long	1371039946                      ; 0x51b868ca
	;; [unrolled: 1-line block ×12, first 2 shown]
	.long	338607286                       ; 0x142ebcb6
	.long	3262593182                      ; 0xc277389e
	.long	2413619772                      ; 0x8fdcea3c
	.long	995824548                       ; 0x3b5b13a4
	.long	3557851982                      ; 0xd410834e
	.long	2470276596                      ; 0x933d6df4
	;; [unrolled: 1-line block ×3, first 2 shown]
	.long	447909575                       ; 0x1ab28ec7
	.long	2962194596                      ; 0xb08f80a4
	.long	282941857                       ; 0x10dd59a1
	.long	3418249797                      ; 0xcbbe5a45
	.long	3300699992                      ; 0xc4bcaf58
	;; [unrolled: 1-line block ×4, first 2 shown]
	.long	370155667                       ; 0x16102093
	.long	1109991145                      ; 0x42291ee9
	.long	933065597                       ; 0x379d737d
	.long	3947818943                      ; 0xeb4eefbf
	.long	3005912276                      ; 0xb32a94d4
	.long	402503017                       ; 0x17fdb569
	.long	4016454981                      ; 0xef663d45
	;; [unrolled: 3-line block ×4, first 2 shown]
	.long	3471578165                      ; 0xceec1435
	.long	908942821                       ; 0x362d5de5
	.long	445067764                       ; 0x1a8731f4
	.long	2732367763                      ; 0xa2dc9f93
	.long	3225606514                      ; 0xc042d972
	;; [unrolled: 1-line block ×5, first 2 shown]
	.long	680726116                       ; 0x28930e64
	.long	3098695319                      ; 0xb8b25697
	.long	2103463364                      ; 0x7d604dc4
	;; [unrolled: 1-line block ×9, first 2 shown]
	.long	806148488                       ; 0x300cd988
	.long	197247918                       ; 0xbc1c3ae
	;; [unrolled: 1-line block ×3, first 2 shown]
	.long	2578888115                      ; 0x99b6b5b3
	.long	4020619856                      ; 0xefa5ca50
	.long	3030619444                      ; 0xb4a39534
	.long	3242554868                      ; 0xc14575f4
	.long	282156707                       ; 0x10d15ea3
	.long	3433259466                      ; 0xcca361ca
	.long	2938924979                      ; 0xaf2c6fb3
	.long	4189583150                      ; 0xf9b7f72e
	.long	1604586306                      ; 0x5fa40b42
	.long	1245779881                      ; 0x4a4117a9
	.long	616758943                       ; 0x24c2fe9f
	.long	2437150739                      ; 0x9143f813
	.long	1749517801                      ; 0x684785e9
	;; [unrolled: 1-line block ×6, first 2 shown]
	.long	342934950                       ; 0x1470c5a6
	.long	216040419                       ; 0xce083e3
	.long	3176519601                      ; 0xbd55d7b1
	.long	545097903                       ; 0x207d88af
	.long	2404801649                      ; 0x8f565c71
	.long	4117851084                      ; 0xf5716bcc
	;; [unrolled: 1-line block ×5, first 2 shown]
	.long	14864453                        ; 0xe2d045
	.long	2272105738                      ; 0x876d950a
	.long	641404242                       ; 0x263b0d52
	.long	3414739418                      ; 0xcb88c9da
	.long	2989955985                      ; 0xb2371b91
	.long	2179417586                      ; 0x81e745f2
	.long	1998875331                      ; 0x77246ac3
	.long	1325970749                      ; 0x4f08b53d
	.long	1633717408                      ; 0x61608ca0
	.long	1896726594                      ; 0x710dc042
	.long	428880410                       ; 0x1990321a
	.long	95705225                        ; 0x5b45889
	.long	580635702                       ; 0x229bcc36
	.long	3543633503                      ; 0xd3378e5f
	.long	3294258049                      ; 0xc45a6381
	;; [unrolled: 1-line block ×6, first 2 shown]
	.long	829668922                       ; 0x3173be3a
	.long	3029657560                      ; 0xb494e7d8
	.long	1291002316                      ; 0x4cf321cc
	;; [unrolled: 1-line block ×4, first 2 shown]
	.long	715635401                       ; 0x2aa7bac9
	.long	397442545                       ; 0x17b07df1
	.long	1908855486                      ; 0x71c6d2be
	.long	1177948589                      ; 0x463611ad
	.long	473118979                       ; 0x1c333903
	.long	443010703                       ; 0x1a67ce8f
	;; [unrolled: 1-line block ×4, first 2 shown]
	.long	1485922673                      ; 0x58916171
	.long	3380103860                      ; 0xc9784ab4
	.long	727464961                       ; 0x2b5c3c01
	.long	3295033100                      ; 0xc466370c
	.long	1727893393                      ; 0x66fd8f91
	;; [unrolled: 1-line block ×6, first 2 shown]
	.long	833779022                       ; 0x31b2754e
	.long	719369683                       ; 0x2ae0b5d3
	.long	3768029740                      ; 0xe097922c
	.long	2215591597                      ; 0x840f3ead
	.long	283414013                       ; 0x10e48dfd
	.long	3694463505                      ; 0xdc350a11
	.long	1137588651                      ; 0x43ce39ab
	;; [unrolled: 1-line block ×27, first 2 shown]
	.long	222960658                       ; 0xd4a1c12
	.long	2681616579                      ; 0x9fd638c3
	.long	2406892654                      ; 0x8f76446e
	;; [unrolled: 1-line block ×13, first 2 shown]
	.long	338607286                       ; 0x142ebcb6
	.long	3262593182                      ; 0xc277389e
	.long	1714619779                      ; 0x66330583
	.long	995824548                       ; 0x3b5b13a4
	.long	3557851982                      ; 0xd410834e
	.long	2470276596                      ; 0x933d6df4
	;; [unrolled: 1-line block ×5, first 2 shown]
	.long	282941857                       ; 0x10dd59a1
	.long	3418249797                      ; 0xcbbe5a45
	.long	3300699992                      ; 0xc4bcaf58
	;; [unrolled: 1-line block ×4, first 2 shown]
	.long	370155667                       ; 0x16102093
	.long	1109991145                      ; 0x42291ee9
	.long	933065597                       ; 0x379d737d
	.long	4126279826                      ; 0xf5f20892
	.long	3005912276                      ; 0xb32a94d4
	.long	402503017                       ; 0x17fdb569
	.long	4016454981                      ; 0xef663d45
	;; [unrolled: 3-line block ×4, first 2 shown]
	.long	2952377979                      ; 0xaff9b67b
	.long	908942821                       ; 0x362d5de5
	.long	445067764                       ; 0x1a8731f4
	.long	2732367763                      ; 0xa2dc9f93
	.long	3225606514                      ; 0xc042d972
	.long	935181950                       ; 0x37bdbe7e
	.long	4104754911                      ; 0xf4a996df
	.long	2134958042                      ; 0x7f40dfda
	.long	680726116                       ; 0x28930e64
	.long	3098695319                      ; 0xb8b25697
	.long	652514936                       ; 0x26e49678
	.long	2946640978                      ; 0xafa22c52
	.long	2428195541                      ; 0x90bb52d5
	;; [unrolled: 1-line block ×7, first 2 shown]
	.long	806148488                       ; 0x300cd988
	.long	197247918                       ; 0xbc1c3ae
	.long	1459523569                      ; 0x56fe8ff1
	.long	2578888115                      ; 0x99b6b5b3
	;; [unrolled: 1-line block ×10, first 2 shown]
	.long	400149547                       ; 0x17d9cc2b
	.long	616758943                       ; 0x24c2fe9f
	.long	2437150739                      ; 0x9143f813
	.long	1749517801                      ; 0x684785e9
	;; [unrolled: 1-line block ×3, first 2 shown]
	.long	571531698                       ; 0x2210e1b2
	.long	2722580830                      ; 0xa247495e
	.long	2457849017                      ; 0x927fccb9
	.long	342934950                       ; 0x1470c5a6
	.long	216040419                       ; 0xce083e3
	.long	3302138698                      ; 0xc4d2a34a
	.long	545097903                       ; 0x207d88af
	.long	2404801649                      ; 0x8f565c71
	.long	4117851084                      ; 0xf5716bcc
	;; [unrolled: 1-line block ×5, first 2 shown]
	.long	14864453                        ; 0xe2d045
	.long	2272105738                      ; 0x876d950a
	.long	641404242                       ; 0x263b0d52
	.long	2446601571                      ; 0x91d42d63
	.long	2989955985                      ; 0xb2371b91
	;; [unrolled: 1-line block ×7, first 2 shown]
	.long	428880410                       ; 0x1990321a
	.long	95705225                        ; 0x5b45889
	.long	580635702                       ; 0x229bcc36
	.long	95529058                        ; 0x5b1a862
	.long	3294258049                      ; 0xc45a6381
	.long	3132946201                      ; 0xbabcf719
	;; [unrolled: 1-line block ×5, first 2 shown]
	.long	829668922                       ; 0x3173be3a
	.long	3029657560                      ; 0xb494e7d8
	.long	1291002316                      ; 0x4cf321cc
	;; [unrolled: 1-line block ×3, first 2 shown]
	.long	332821128                       ; 0x13d67288
	.long	715635401                       ; 0x2aa7bac9
	.long	397442545                       ; 0x17b07df1
	.long	1908855486                      ; 0x71c6d2be
	.long	1177948589                      ; 0x463611ad
	;; [unrolled: 1-line block ×3, first 2 shown]
	.long	443010703                       ; 0x1a67ce8f
	.long	990384909                       ; 0x3b08130d
	;; [unrolled: 1-line block ×3, first 2 shown]
	.long	1485922673                      ; 0x58916171
	.long	3468390490                      ; 0xcebb705a
	.long	727464961                       ; 0x2b5c3c01
	.long	3295033100                      ; 0xc466370c
	.long	1727893393                      ; 0x66fd8f91
	;; [unrolled: 1-line block ×6, first 2 shown]
	.long	833779022                       ; 0x31b2754e
	.long	719369683                       ; 0x2ae0b5d3
	.long	3336941985                      ; 0xc6e5b1a1
	.long	2215591597                      ; 0x840f3ead
	.long	283414013                       ; 0x10e48dfd
	.long	3694463505                      ; 0xdc350a11
	.long	1137588651                      ; 0x43ce39ab
	;; [unrolled: 1-line block ×22, first 2 shown]
	.long	654850701                       ; 0x27083a8d
	.long	1353658829                      ; 0x50af31cd
	.long	2782805925                      ; 0xa5de3fa5
	;; [unrolled: 1-line block ×18, first 2 shown]
	.long	338607286                       ; 0x142ebcb6
	.long	1161080599                      ; 0x4534af17
	.long	1714619779                      ; 0x66330583
	.long	995824548                       ; 0x3b5b13a4
	.long	3557851982                      ; 0xd410834e
	.long	2470276596                      ; 0x933d6df4
	.long	3162659171                      ; 0xbc825963
	.long	2342751414                      ; 0x8ba38cb6
	.long	2962194596                      ; 0xb08f80a4
	.long	282941857                       ; 0x10dd59a1
	.long	3418249797                      ; 0xcbbe5a45
	.long	1032034511                      ; 0x3d8398cf
	;; [unrolled: 1-line block ×4, first 2 shown]
	.long	370155667                       ; 0x16102093
	.long	1109991145                      ; 0x42291ee9
	.long	2568097099                      ; 0x99120d4b
	;; [unrolled: 1-line block ×4, first 2 shown]
	.long	402503017                       ; 0x17fdb569
	.long	4016454981                      ; 0xef663d45
	.long	3196575353                      ; 0xbe87de79
	.long	618040940                       ; 0x24d68e6c
	.long	2884057401                      ; 0xabe73939
	.long	2752078014                      ; 0xa40960be
	;; [unrolled: 3-line block ×3, first 2 shown]
	.long	908942821                       ; 0x362d5de5
	.long	445067764                       ; 0x1a8731f4
	.long	2732367763                      ; 0xa2dc9f93
	.long	174723563                       ; 0xa6a11eb
	.long	935181950                       ; 0x37bdbe7e
	.long	4104754911                      ; 0xf4a996df
	.long	2134958042                      ; 0x7f40dfda
	.long	680726116                       ; 0x28930e64
	.long	649687363                       ; 0x26b97143
	;; [unrolled: 1-line block ×3, first 2 shown]
	.long	2946640978                      ; 0xafa22c52
	.long	2428195541                      ; 0x90bb52d5
	.long	2433504485                      ; 0x910c54e5
	.long	3735735592                      ; 0xdeaacd28
	.long	1834165243                      ; 0x6d5323fb
	.long	1252490765                      ; 0x4aa77e0d
	.long	2375226348                      ; 0x8d9313ec
	.long	806148488                       ; 0x300cd988
	.long	3720638976                      ; 0xddc47200
	.long	1459523569                      ; 0x56fe8ff1
	;; [unrolled: 1-line block ×5, first 2 shown]
	.long	283333114                       ; 0x10e351fa
	.long	2222750155                      ; 0x847c79cb
	.long	3433259466                      ; 0xcca361ca
	.long	2938924979                      ; 0xaf2c6fb3
	.long	4189583150                      ; 0xf9b7f72e
	.long	870522428                       ; 0x33e31e3c
	.long	400149547                       ; 0x17d9cc2b
	;; [unrolled: 1-line block ×3, first 2 shown]
	.long	2437150739                      ; 0x9143f813
	.long	1749517801                      ; 0x684785e9
	.long	999295363                       ; 0x3b900983
	.long	571531698                       ; 0x2210e1b2
	.long	2722580830                      ; 0xa247495e
	.long	2457849017                      ; 0x927fccb9
	.long	342934950                       ; 0x1470c5a6
	.long	3151292467                      ; 0xbbd4e833
	.long	2839665217                      ; 0xa941da41
	;; [unrolled: 1-line block ×3, first 2 shown]
	.long	208520727                       ; 0xc6dc617
	.long	2269948412                      ; 0x874ca9fc
	.long	344787478                       ; 0x148d0a16
	.long	3987474076                      ; 0xedac069c
	.long	3770524881                      ; 0xe0bda4d1
	;; [unrolled: 1-line block ×4, first 2 shown]
	.long	850790212                       ; 0x32b60744
	.long	639946566                       ; 0x2624cf46
	.long	2073602691                      ; 0x7b98aa83
	.long	2316769983                      ; 0x8a171abf
	;; [unrolled: 1-line block ×4, first 2 shown]
	.long	61447995                        ; 0x3a99f3b
	.long	3718817085                      ; 0xdda8a53d
	.long	1476398788                      ; 0x58000ec4
	;; [unrolled: 1-line block ×4, first 2 shown]
	.long	454482110                       ; 0x1b16d8be
	.long	286330934                       ; 0x11111036
	.long	2119173159                      ; 0x7e500427
	.long	1693518756                      ; 0x64f10ba4
	;; [unrolled: 1-line block ×10, first 2 shown]
	.long	671386673                       ; 0x28048c31
	.long	1583086162                      ; 0x5e5bfa52
	.long	1114723892                      ; 0x42715634
	.long	2936863300                      ; 0xaf0cfa44
	.long	2620955107                      ; 0x9c3899e3
	.long	2628074015                      ; 0x9ca53a1f
	.long	426673611                       ; 0x196e85cb
	.long	3370181092                      ; 0xc8e0e1e4
	.long	3462245129                      ; 0xce5dab09
	;; [unrolled: 1-line block ×4, first 2 shown]
	.long	171626554                       ; 0xa3ad03a
	.long	3647663038                      ; 0xd96aebbe
	.long	880996914                       ; 0x3482f232
	.long	1155913149                      ; 0x44e5d5bd
	.long	2653278555                      ; 0x9e25d15b
	.long	508978149                       ; 0x1e5663e5
	.long	2031872445                      ; 0x791be9bd
	.long	3041145171                      ; 0xb5443153
	;; [unrolled: 1-line block ×3, first 2 shown]
	.long	127509725                       ; 0x799a4dd
	.long	1336955078                      ; 0x4fb050c6
	.long	727702092                       ; 0x2b5fda4c
	.long	693349672                       ; 0x2953ad28
	;; [unrolled: 1-line block ×3, first 2 shown]
	.long	2287631318                      ; 0x885a7bd6
	.long	961427722                       ; 0x394e390a
	.long	3355851447                      ; 0xc8063ab7
	.long	821851136                       ; 0x30fc7400
	.long	2370998072                      ; 0x8d528f38
	.long	4027450519                      ; 0xf00e0497
	;; [unrolled: 1-line block ×3, first 2 shown]
	.long	144596514                       ; 0x89e5e22
	.long	3295312213                      ; 0xc46a7955
	.long	2579322479                      ; 0x99bd566f
	;; [unrolled: 1-line block ×4, first 2 shown]
	.long	179988815                       ; 0xaba694f
	.long	2123828208                      ; 0x7e970bf0
	.long	1486957870                      ; 0x58a12d2e
	;; [unrolled: 1-line block ×3, first 2 shown]
	.long	288096701                       ; 0x112c01bd
	.long	1211834301                      ; 0x483b1fbd
	.long	1819157080                      ; 0x6c6e2258
	;; [unrolled: 1-line block ×7, first 2 shown]
	.long	29376415                        ; 0x1c03f9f
	.long	437788821                       ; 0x1a182095
	.long	994675658                       ; 0x3b498bca
	.long	1014591996                      ; 0x3c7971fc
	.long	296335443                       ; 0x11a9b853
	.long	363551454                       ; 0x15ab5ade
	.long	2628890394                      ; 0x9cb1af1a
	.long	332401256                       ; 0x13d00a68
	.long	2288239762                      ; 0x8863c492
	.long	3766239385                      ; 0xe07c4099
	.long	317162173                       ; 0x12e782bd
	.long	3721125104                      ; 0xddcbdcf0
	.long	2296650899                      ; 0x88e41c93
	.long	56428392                        ; 0x35d0768
	.long	3900411067                      ; 0xe87b8cbb
	.long	2303724992                      ; 0x89500dc0
	;; [unrolled: 1-line block ×4, first 2 shown]
	.long	612032498                       ; 0x247adff2
	.long	1171213235                      ; 0x45cf4bb3
	.long	2494454628                      ; 0x94ae5b64
	;; [unrolled: 1-line block ×8, first 2 shown]
	.long	937522278                       ; 0x37e17466
	.long	32800830                        ; 0x1f4803e
	.long	324902076                       ; 0x135d9cbc
	.long	2365753207                      ; 0x8d028777
	.long	2251160429                      ; 0x862dfb6d
	;; [unrolled: 1-line block ×4, first 2 shown]
	.long	119047416                       ; 0x71884f8
	.long	1821685115                      ; 0x6c94b57b
	.long	1486296407                      ; 0x58971557
	;; [unrolled: 1-line block ×18, first 2 shown]
	.long	395148869                       ; 0x178d7e45
	.long	1331347439                      ; 0x4f5abfef
	.long	2682558741                      ; 0x9fe49915
	;; [unrolled: 1-line block ×12, first 2 shown]
	.long	211743500                       ; 0xc9ef30c
	.long	2746391743                      ; 0xa3b29cbf
	.long	3333387219                      ; 0xc6af73d3
	;; [unrolled: 1-line block ×11, first 2 shown]
	.long	216975964                       ; 0xceeca5c
	.long	4145824263                      ; 0xf71c4207
	.long	2147471723                      ; 0x7fffd16b
	;; [unrolled: 1-line block ×3, first 2 shown]
	.long	161744273                       ; 0x9a40591
	.long	1299764439                      ; 0x4d78d4d7
	.long	3468614543                      ; 0xcebedb8f
	;; [unrolled: 1-line block ×4, first 2 shown]
	.long	754999274                       ; 0x2d005fea
	.long	208153182                       ; 0xc682a5e
	.long	1442063188                      ; 0x55f42354
	.long	2940825403                      ; 0xaf496f3b
	.long	729331312                       ; 0x2b78b670
	.long	2124186505                      ; 0x7e9c8389
	.long	1136411459                      ; 0x43bc4343
	;; [unrolled: 1-line block ×3, first 2 shown]
	.long	442264548                       ; 0x1a5c6be4
	.long	442338468                       ; 0x1a5d8ca4
	;; [unrolled: 1-line block ×3, first 2 shown]
	.long	3509461223                      ; 0xd12e20e7
	.long	4241734851                      ; 0xfcd3bcc3
	.long	370778328                       ; 0x1619a0d8
	.long	4003105058                      ; 0xee9a8922
	.long	3163637982                      ; 0xbc9148de
	;; [unrolled: 1-line block ×5, first 2 shown]
	.long	536564977                       ; 0x1ffb54f1
	.long	1171222160                      ; 0x45cf6e90
	.long	3268902719                      ; 0xc2d77f3f
	;; [unrolled: 1-line block ×9, first 2 shown]
	.long	569252594                       ; 0x21ee1af2
	.long	2640731848                      ; 0x9d665ec8
	.long	2947042710                      ; 0xafa84d96
	;; [unrolled: 1-line block ×8, first 2 shown]
	.long	383549855                       ; 0x16dc819f
	.long	3211856699                      ; 0xbf710b3b
	.long	3933793958                      ; 0xea78eea6
	;; [unrolled: 1-line block ×3, first 2 shown]
	.long	404006876                       ; 0x1814a7dc
	.long	1369488120                      ; 0x51a0baf8
	.long	1963339964                      ; 0x750630bc
	.long	609604643                       ; 0x2455d423
	.long	2488118016                      ; 0x944dab00
	.long	3936354252                      ; 0xea9fffcc
	.long	1980115609                      ; 0x76062a99
	.long	189069630                       ; 0xb44f93e
	.long	860670414                       ; 0x334cc9ce
	.long	85775513                        ; 0x51cd499
	.long	2447581620                      ; 0x91e321b4
	.long	886385122                       ; 0x34d529e2
	.long	3047212472                      ; 0xb5a0c5b8
	.long	2470718978                      ; 0x93442e02
	.long	4044569663                      ; 0xf1133c3f
	.long	430717074                       ; 0x19ac3892
	.long	1598133481                      ; 0x5f4194e9
	.long	1905362808                      ; 0x71918778
	;; [unrolled: 1-line block ×7, first 2 shown]
	.long	700013801                       ; 0x29b95ce9
	.long	3025873251                      ; 0xb45b2963
	.long	3413358770                      ; 0xcb73b8b2
	;; [unrolled: 1-line block ×3, first 2 shown]
	.long	113651375                       ; 0x6c62eaf
	.long	2618875026                      ; 0x9c18dc92
	.long	1479752146                      ; 0x583339d2
	.long	81598739                        ; 0x4dd1913
	.long	1530418117                      ; 0x5b3853c5
	.long	962911586                       ; 0x3964dd62
	.long	778994423                       ; 0x2e6e82f7
	.long	3944331100                      ; 0xeb19b75c
	.long	4116504755                      ; 0xf55ce0b3
	.long	480712357                       ; 0x1ca716a5
	.long	1078821437                      ; 0x404d823d
	.long	1091665476                      ; 0x41117e44
	;; [unrolled: 1-line block ×6, first 2 shown]
	.long	768289441                       ; 0x2dcb2aa1
	.long	3142741843                      ; 0xbb526f53
	.long	2969151790                      ; 0xb0f9a92e
	;; [unrolled: 1-line block ×4, first 2 shown]
	.long	451935137                       ; 0x1aeffba1
	.long	2784993892                      ; 0xa5ffa264
	.long	1836517944                      ; 0x6d770a38
	;; [unrolled: 1-line block ×5, first 2 shown]
	.long	33407321                        ; 0x1fdc159
	.long	1445768530                      ; 0x562cad52
	.long	2156093253                      ; 0x80835f45
	;; [unrolled: 1-line block ×4, first 2 shown]
	.long	298945371                       ; 0x11d18b5b
	.long	2558835427                      ; 0x9884bae3
	.long	1386275152                      ; 0x52a0e150
	;; [unrolled: 1-line block ×3, first 2 shown]
	.long	893605644                       ; 0x3543570c
	.long	1147537351                      ; 0x446607c7
	.long	1889670166                      ; 0x70a21416
	;; [unrolled: 1-line block ×4, first 2 shown]
	.long	966335150                       ; 0x39991aae
	.long	3384227644                      ; 0xc9b7373c
	.long	2584671737                      ; 0x9a0ef5f9
	.long	552770393                       ; 0x20f29b59
	.long	2430097209                      ; 0x90d85739
	.long	3085150053                      ; 0xb7e3a765
	;; [unrolled: 1-line block ×12, first 2 shown]
	.long	484007519                       ; 0x1cd95e5f
	.long	491681421                       ; 0x1d4e768d
	.long	2498192461                      ; 0x94e7644d
	.long	6342020                         ; 0x60c584
	.long	4226570819                      ; 0xfbec5a43
	.long	2329860147                      ; 0x8aded833
	;; [unrolled: 1-line block ×5, first 2 shown]
	.long	918592905                       ; 0x36c09d89
	.long	193599782                       ; 0xb8a1926
	.long	4223250613                      ; 0xfbb9b0b5
	.long	1640082589                      ; 0x61c1ac9d
	;; [unrolled: 1-line block ×8, first 2 shown]
	.long	696907828                       ; 0x2989f834
	.long	2431936270                      ; 0x90f4670e
	.long	627206620                       ; 0x256269dc
	.long	3267100287                      ; 0xc2bbfe7f
	.long	1161821973                      ; 0x453fff15
	;; [unrolled: 1-line block ×4, first 2 shown]
	.long	216975964                       ; 0xceeca5c
	.long	4145824263                      ; 0xf71c4207
	.long	2147471723                      ; 0x7fffd16b
	;; [unrolled: 1-line block ×9, first 2 shown]
	.long	208153182                       ; 0xc682a5e
	.long	1442063188                      ; 0x55f42354
	.long	2940825403                      ; 0xaf496f3b
	.long	729331312                       ; 0x2b78b670
	.long	2954254860                      ; 0xb0165a0c
	.long	1136411459                      ; 0x43bc4343
	;; [unrolled: 1-line block ×3, first 2 shown]
	.long	442264548                       ; 0x1a5c6be4
	.long	442338468                       ; 0x1a5d8ca4
	.long	3098695824                      ; 0xb8b25890
	.long	3509461223                      ; 0xd12e20e7
	;; [unrolled: 1-line block ×3, first 2 shown]
	.long	370778328                       ; 0x1619a0d8
	.long	4003105058                      ; 0xee9a8922
	.long	2963948505                      ; 0xb0aa43d9
	;; [unrolled: 1-line block ×5, first 2 shown]
	.long	536564977                       ; 0x1ffb54f1
	.long	1565224991                      ; 0x5d4b701f
	.long	3268902719                      ; 0xc2d77f3f
	;; [unrolled: 1-line block ×9, first 2 shown]
	.long	569252594                       ; 0x21ee1af2
	.long	610771792                       ; 0x2467a350
	.long	2947042710                      ; 0xafa84d96
	.long	2633188904                      ; 0x9cf34628
	;; [unrolled: 1-line block ×7, first 2 shown]
	.long	383549855                       ; 0x16dc819f
	.long	3211856699                      ; 0xbf710b3b
	.long	14274926                        ; 0xd9d16e
	.long	1988232112                      ; 0x768203b0
	.long	404006876                       ; 0x1814a7dc
	.long	1369488120                      ; 0x51a0baf8
	.long	1963339964                      ; 0x750630bc
	;; [unrolled: 1-line block ×6, first 2 shown]
	.long	189069630                       ; 0xb44f93e
	.long	595192504                       ; 0x2379eab8
	.long	85775513                        ; 0x51cd499
	.long	2447581620                      ; 0x91e321b4
	.long	886385122                       ; 0x34d529e2
	.long	3047212472                      ; 0xb5a0c5b8
	.long	1596069326                      ; 0x5f2215ce
	;; [unrolled: 1-line block ×3, first 2 shown]
	.long	430717074                       ; 0x19ac3892
	.long	1598133481                      ; 0x5f4194e9
	.long	1905362808                      ; 0x71918778
	;; [unrolled: 1-line block ×11, first 2 shown]
	.long	113651375                       ; 0x6c62eaf
	.long	1721474883                      ; 0x669b9f43
	.long	1479752146                      ; 0x583339d2
	.long	81598739                        ; 0x4dd1913
	.long	1530418117                      ; 0x5b3853c5
	.long	962911586                       ; 0x3964dd62
	.long	3478535046                      ; 0xcf563b86
	.long	3944331100                      ; 0xeb19b75c
	;; [unrolled: 1-line block ×3, first 2 shown]
	.long	480712357                       ; 0x1ca716a5
	.long	1078821437                      ; 0x404d823d
	.long	1456786415                      ; 0x56d4cbef
	;; [unrolled: 1-line block ×17, first 2 shown]
	.long	33407321                        ; 0x1fdc159
	.long	1445768530                      ; 0x562cad52
	.long	2156093253                      ; 0x80835f45
	;; [unrolled: 1-line block ×3, first 2 shown]
	.long	619266142                       ; 0x24e9405e
	.long	298945371                       ; 0x11d18b5b
	.long	2558835427                      ; 0x9884bae3
	.long	1386275152                      ; 0x52a0e150
	;; [unrolled: 1-line block ×3, first 2 shown]
	.long	97967685                        ; 0x5d6de45
	.long	1147537351                      ; 0x446607c7
	.long	1889670166                      ; 0x70a21416
	;; [unrolled: 1-line block ×4, first 2 shown]
	.long	504495866                       ; 0x1e11fefa
	.long	3384227644                      ; 0xc9b7373c
	.long	2584671737                      ; 0x9a0ef5f9
	.long	552770393                       ; 0x20f29b59
	.long	2430097209                      ; 0x90d85739
	.long	2168477293                      ; 0x8140566d
	;; [unrolled: 1-line block ×12, first 2 shown]
	.long	484007519                       ; 0x1cd95e5f
	.long	491681421                       ; 0x1d4e768d
	.long	2498192461                      ; 0x94e7644d
	.long	6342020                         ; 0x60c584
	.long	318325395                       ; 0x12f94293
	.long	2329860147                      ; 0x8aded833
	.long	1097040622                      ; 0x416382ee
	;; [unrolled: 1-line block ×5, first 2 shown]
	.long	193599782                       ; 0xb8a1926
	.long	4223250613                      ; 0xfbb9b0b5
	.long	1640082589                      ; 0x61c1ac9d
	;; [unrolled: 1-line block ×10, first 2 shown]
	.long	627206620                       ; 0x256269dc
	.long	3267100287                      ; 0xc2bbfe7f
	.long	1161821973                      ; 0x453fff15
	.long	3904037207                      ; 0xe8b2e157
	.long	1700245615                      ; 0x6557b06f
	.long	216975964                       ; 0xceeca5c
	.long	4145824263                      ; 0xf71c4207
	.long	2147471723                      ; 0x7fffd16b
	;; [unrolled: 1-line block ×7, first 2 shown]
	.long	639361502                       ; 0x261be1de
	.long	2176257299                      ; 0x81b70d13
	.long	208153182                       ; 0xc682a5e
	.long	1442063188                      ; 0x55f42354
	.long	2940825403                      ; 0xaf496f3b
	.long	2962998954                      ; 0xb09bc6aa
	.long	2954254860                      ; 0xb0165a0c
	.long	1136411459                      ; 0x43bc4343
	.long	1083787490                      ; 0x409948e2
	.long	442264548                       ; 0x1a5c6be4
	.long	1812626669                      ; 0x6c0a7ced
	.long	3098695824                      ; 0xb8b25890
	.long	3509461223                      ; 0xd12e20e7
	.long	4241734851                      ; 0xfcd3bcc3
	.long	370778328                       ; 0x1619a0d8
	.long	1673951193                      ; 0x63c677d9
	.long	2963948505                      ; 0xb0aa43d9
	.long	3747133182                      ; 0xdf58b6fe
	.long	1433548371                      ; 0x55723653
	.long	1876378240                      ; 0x6fd74280
	.long	3651623536                      ; 0xd9a75a70
	.long	1565224991                      ; 0x5d4b701f
	.long	3268902719                      ; 0xc2d77f3f
	.long	2725776746                      ; 0xa2780d6a
	.long	1547771137                      ; 0x5c411d01
	.long	1938402968                      ; 0x7389ae98
	.long	2118790546                      ; 0x7e4a2d92
	.long	2677094853                      ; 0x9f9139c5
	.long	1594765197                      ; 0x5f0e2f8d
	.long	1556725424                      ; 0x5cc9beb0
	.long	3267956202                      ; 0xc2c90dea
	.long	610771792                       ; 0x2467a350
	.long	2947042710                      ; 0xafa84d96
	.long	2633188904                      ; 0x9cf34628
	.long	1640957370                      ; 0x61cf05ba
	.long	1448040688                      ; 0x564f58f0
	.long	2121022793                      ; 0x7e6c3d49
	.long	2632220187                      ; 0x9ce47e1b
	.long	2740076538                      ; 0xa3523ffa
	.long	383549855                       ; 0x16dc819f
	.long	300148175                       ; 0x11e3e5cf
	.long	14274926                        ; 0xd9d16e
	.long	1988232112                      ; 0x768203b0
	.long	404006876                       ; 0x1814a7dc
	.long	1369488120                      ; 0x51a0baf8
	.long	3313508750                      ; 0xc580218e
	;; [unrolled: 1-line block ×7, first 2 shown]
	.long	595192504                       ; 0x2379eab8
	.long	85775513                        ; 0x51cd499
	.long	2447581620                      ; 0x91e321b4
	.long	886385122                       ; 0x34d529e2
	.long	2465820467                      ; 0x92f96f33
	.long	1596069326                      ; 0x5f2215ce
	;; [unrolled: 1-line block ×3, first 2 shown]
	.long	430717074                       ; 0x19ac3892
	.long	1598133481                      ; 0x5f4194e9
	.long	4191772516                      ; 0xf9d95f64
	;; [unrolled: 1-line block ×6, first 2 shown]
	.long	997741285                       ; 0x3b7852e5
	.long	1121764918                      ; 0x42dcc636
	.long	3025873251                      ; 0xb45b2963
	;; [unrolled: 1-line block ×7, first 2 shown]
	.long	81598739                        ; 0x4dd1913
	.long	1530418117                      ; 0x5b3853c5
	.long	2762019274                      ; 0xa4a111ca
	;; [unrolled: 1-line block ×5, first 2 shown]
	.long	480712357                       ; 0x1ca716a5
	.long	448437372                       ; 0x1aba9c7c
	.long	1456786415                      ; 0x56d4cbef
	.long	3696871260                      ; 0xdc59c75c
	;; [unrolled: 1-line block ×14, first 2 shown]
	.long	377207573                       ; 0x167bbb15
	.long	2621366329                      ; 0x9c3ee039
	.long	33407321                        ; 0x1fdc159
	.long	1445768530                      ; 0x562cad52
	.long	2156093253                      ; 0x80835f45
	;; [unrolled: 1-line block ×3, first 2 shown]
	.long	619266142                       ; 0x24e9405e
	.long	298945371                       ; 0x11d18b5b
	.long	2558835427                      ; 0x9884bae3
	.long	1386275152                      ; 0x52a0e150
	;; [unrolled: 1-line block ×3, first 2 shown]
	.long	97967685                        ; 0x5d6de45
	.long	1147537351                      ; 0x446607c7
	.long	1889670166                      ; 0x70a21416
	;; [unrolled: 1-line block ×4, first 2 shown]
	.long	504495866                       ; 0x1e11fefa
	.long	3384227644                      ; 0xc9b7373c
	.long	2584671737                      ; 0x9a0ef5f9
	.long	552770393                       ; 0x20f29b59
	.long	1562106652                      ; 0x5d1bdb1c
	.long	2168477293                      ; 0x8140566d
	;; [unrolled: 1-line block ×12, first 2 shown]
	.long	484007519                       ; 0x1cd95e5f
	.long	491681421                       ; 0x1d4e768d
	.long	2498192461                      ; 0x94e7644d
	.long	745333677                       ; 0x2c6ce3ad
	.long	318325395                       ; 0x12f94293
	.long	2329860147                      ; 0x8aded833
	.long	1097040622                      ; 0x416382ee
	;; [unrolled: 1-line block ×3, first 2 shown]
	.long	208017379                       ; 0xc6617e3
	.long	3458698828                      ; 0xce278e4c
	.long	193599782                       ; 0xb8a1926
	.long	4223250613                      ; 0xfbb9b0b5
	.long	1640082589                      ; 0x61c1ac9d
	;; [unrolled: 1-line block ×10, first 2 shown]
	.long	627206620                       ; 0x256269dc
	.long	3267100287                      ; 0xc2bbfe7f
	.long	1186015034                      ; 0x46b1273a
	;; [unrolled: 1-line block ×4, first 2 shown]
	.long	216975964                       ; 0xceeca5c
	.long	4145824263                      ; 0xf71c4207
	.long	2422827462                      ; 0x906969c6
	;; [unrolled: 1-line block ×7, first 2 shown]
	.long	639361502                       ; 0x261be1de
	.long	2176257299                      ; 0x81b70d13
	.long	208153182                       ; 0xc682a5e
	.long	1442063188                      ; 0x55f42354
	.long	4065931048                      ; 0xf2592f28
	;; [unrolled: 1-line block ×6, first 2 shown]
	.long	465529524                       ; 0x1bbf6ab4
	.long	1812626669                      ; 0x6c0a7ced
	.long	3098695824                      ; 0xb8b25890
	;; [unrolled: 1-line block ×19, first 2 shown]
	.long	348828658                       ; 0x14cab3f2
	.long	3267956202                      ; 0xc2c90dea
	.long	610771792                       ; 0x2467a350
	.long	2947042710                      ; 0xafa84d96
	.long	2633188904                      ; 0x9cf34628
	;; [unrolled: 1-line block ×8, first 2 shown]
	.long	300148175                       ; 0x11e3e5cf
	.long	14274926                        ; 0xd9d16e
	.long	1988232112                      ; 0x768203b0
	.long	404006876                       ; 0x1814a7dc
	.long	3662575932                      ; 0xda4e793c
	.long	3313508750                      ; 0xc580218e
	.long	1661081792                      ; 0x630218c0
	.long	2488118016                      ; 0x944dab00
	.long	3936354252                      ; 0xea9fffcc
	.long	3100635752                      ; 0xb8cff268
	.long	2631341293                      ; 0x9cd714ed
	.long	595192504                       ; 0x2379eab8
	.long	85775513                        ; 0x51cd499
	.long	2447581620                      ; 0x91e321b4
	.long	2417839883                      ; 0x901d4f0b
	;; [unrolled: 1-line block ×5, first 2 shown]
	.long	430717074                       ; 0x19ac3892
	.long	1093503127                      ; 0x412d8897
	.long	4191772516                      ; 0xf9d95f64
	;; [unrolled: 1-line block ×6, first 2 shown]
	.long	997741285                       ; 0x3b7852e5
	.long	1121764918                      ; 0x42dcc636
	.long	3025873251                      ; 0xb45b2963
	;; [unrolled: 1-line block ×3, first 2 shown]
	.long	222522839                       ; 0xd436dd7
	.long	1493832846                      ; 0x590a148e
	.long	1721474883                      ; 0x669b9f43
	.long	1479752146                      ; 0x583339d2
	.long	81598739                        ; 0x4dd1913
	.long	3132900738                      ; 0xbabc4582
	.long	2762019274                      ; 0xa4a111ca
	;; [unrolled: 1-line block ×6, first 2 shown]
	.long	448437372                       ; 0x1aba9c7c
	.long	1456786415                      ; 0x56d4cbef
	.long	3696871260                      ; 0xdc59c75c
	;; [unrolled: 1-line block ×14, first 2 shown]
	.long	377207573                       ; 0x167bbb15
	.long	2621366329                      ; 0x9c3ee039
	.long	33407321                        ; 0x1fdc159
	.long	1445768530                      ; 0x562cad52
	.long	4266168148                      ; 0xfe488f54
	;; [unrolled: 1-line block ×3, first 2 shown]
	.long	619266142                       ; 0x24e9405e
	.long	298945371                       ; 0x11d18b5b
	.long	2558835427                      ; 0x9884bae3
	.long	1447045944                      ; 0x56402b38
	;; [unrolled: 1-line block ×3, first 2 shown]
	.long	97967685                        ; 0x5d6de45
	.long	1147537351                      ; 0x446607c7
	.long	1889670166                      ; 0x70a21416
	;; [unrolled: 1-line block ×4, first 2 shown]
	.long	504495866                       ; 0x1e11fefa
	.long	3384227644                      ; 0xc9b7373c
	.long	2584671737                      ; 0x9a0ef5f9
	;; [unrolled: 1-line block ×15, first 2 shown]
	.long	484007519                       ; 0x1cd95e5f
	.long	491681421                       ; 0x1d4e768d
	;; [unrolled: 1-line block ×5, first 2 shown]
	.long	2329860147                      ; 0x8aded833
	.long	1097040622                      ; 0x416382ee
	;; [unrolled: 1-line block ×3, first 2 shown]
	.long	208017379                       ; 0xc6617e3
	.long	3458698828                      ; 0xce278e4c
	.long	193599782                       ; 0xb8a1926
	.long	4223250613                      ; 0xfbb9b0b5
	.long	1102471426                      ; 0x41b66102
	;; [unrolled: 1-line block ×10, first 2 shown]
	.long	627206620                       ; 0x256269dc
	.long	2511999766                      ; 0x95ba1316
	.long	1406946444                      ; 0x53dc4c8c
	;; [unrolled: 1-line block ×6, first 2 shown]
	.long	740531687                       ; 0x2c239de7
	.long	2852637013                      ; 0xaa07c955
	.long	1574342442                      ; 0x5dd68f2a
	;; [unrolled: 1-line block ×8, first 2 shown]
	.long	250670029                       ; 0xef0ebcd
	.long	89330705                        ; 0x5531411
	.long	2198706475                      ; 0x830d992b
	.long	133060312                       ; 0x7ee56d8
	.long	4033807246                      ; 0xf06f038e
	.long	2161604768                      ; 0x80d778a0
	;; [unrolled: 1-line block ×4, first 2 shown]
	.long	828316231                       ; 0x315f1a47
	.long	3126087794                      ; 0xba545072
	.long	3740050736                      ; 0xdeeca530
	.long	543577819                       ; 0x206656db
	.long	1589693651                      ; 0x5ec0ccd3
	.long	4210480257                      ; 0xfaf6d481
	.long	3844498352                      ; 0xe52663b0
	.long	96010254                        ; 0x5b9000e
	.long	2888517657                      ; 0xac2b4819
	.long	2931088981                      ; 0xaeb4de55
	;; [unrolled: 1-line block ×5, first 2 shown]
	.long	918899600                       ; 0x36c54b90
	.long	888509951                       ; 0x34f595ff
	.long	3023902229                      ; 0xb43d1615
	.long	1371276096                      ; 0x51bc0340
	;; [unrolled: 1-line block ×7, first 2 shown]
	.long	487705749                       ; 0x1d11cc95
	.long	492891601                       ; 0x1d60edd1
	;; [unrolled: 1-line block ×3, first 2 shown]
	.long	3230138831                      ; 0xc08801cf
	.long	1022138839                      ; 0x3cec99d7
	.long	974682588                       ; 0x3a1879dc
	.long	3677932604                      ; 0xdb38cc3c
	.long	2054641860                      ; 0x7a7758c4
	;; [unrolled: 1-line block ×8, first 2 shown]
	.long	205698774                       ; 0xc42b6d6
	.long	2401894999                      ; 0x8f2a0257
	.long	3253173123                      ; 0xc1e77b83
	;; [unrolled: 1-line block ×14, first 2 shown]
	.long	45139953                        ; 0x2b0c7f1
	.long	3914023193                      ; 0xe94b4119
	.long	1253834497                      ; 0x4abbff01
	;; [unrolled: 1-line block ×19, first 2 shown]
	.long	974161669                       ; 0x3a108705
	.long	1739611700                      ; 0x67b05e34
	.long	2522036172                      ; 0x965337cc
	;; [unrolled: 1-line block ×4, first 2 shown]
	.long	911135539                       ; 0x364ed333
	.long	1029496076                      ; 0x3d5cdd0c
	.long	1786766951                      ; 0x6a7fe667
	;; [unrolled: 1-line block ×11, first 2 shown]
	.long	719777136                       ; 0x2ae6ed70
	.long	417238676                       ; 0x18de8e94
	.long	1865171065                      ; 0x6f2c4079
	.long	801820378                       ; 0x2fcaceda
	.long	2836941189                      ; 0xa9184985
	.long	1148226009                      ; 0x447089d9
	;; [unrolled: 1-line block ×3, first 2 shown]
	.long	64608707                        ; 0x3d9d9c3
	.long	1458585813                      ; 0x56f040d5
	.long	3581572089                      ; 0xd57a73f9
	.long	2251042907                      ; 0x862c305b
	.long	1818903516                      ; 0x6c6a43dc
	.long	3278072806                      ; 0xc3636be6
	.long	2838874249                      ; 0xa935c889
	.long	2665607605                      ; 0x9ee1f1b5
	.long	3360214955                      ; 0xc848cfab
	.long	2185961451                      ; 0x824b1feb
	.long	410342713                       ; 0x18755539
	.long	364484774                       ; 0x15b998a6
	.long	2887998484                      ; 0xac235c14
	.long	2100888426                      ; 0x7d39036a
	;; [unrolled: 1-line block ×8, first 2 shown]
	.long	290430673                       ; 0x114f9ed1
	.long	2588210538                      ; 0x9a44f56a
	.long	2493788232                      ; 0x94a43048
	;; [unrolled: 1-line block ×5, first 2 shown]
	.long	692014176                       ; 0x293f4c60
	.long	3268150742                      ; 0xc2cc05d6
	.long	387451740                       ; 0x17180b5c
	.long	461249727                       ; 0x1b7e1cbf
	.long	3579417331                      ; 0xd55992f3
	.long	3738405845                      ; 0xded38bd5
	.long	385445455                       ; 0x16f96e4f
	.long	1464799053                      ; 0x574f0f4d
	.long	2786433795                      ; 0xa6159b03
	;; [unrolled: 1-line block ×3, first 2 shown]
	.long	675344511                       ; 0x2840f07f
	.long	4049011269                      ; 0xf1570245
	.long	2196568686                      ; 0x82ecfa6e
	;; [unrolled: 1-line block ×4, first 2 shown]
	.long	119952106                       ; 0x72652ea
	.long	2307933966                      ; 0x8990470e
	.long	145940188                       ; 0x8b2dedc
	.long	4247815717                      ; 0xfd308625
	.long	2995341855                      ; 0xb2894a1f
	;; [unrolled: 1-line block ×4, first 2 shown]
	.long	232910392                       ; 0xde1ee38
	.long	2718014238                      ; 0xa2019b1e
	.long	918321585                       ; 0x36bc79b1
	.long	3583102265                      ; 0xd591cd39
	.long	3176078796                      ; 0xbd4f1dcc
	.long	937696513                       ; 0x37e41d01
	.long	266558688                       ; 0xfe35ce0
	.long	1520650260                      ; 0x5aa34814
	.long	3655025189                      ; 0xd9db4225
	;; [unrolled: 1-line block ×3, first 2 shown]
	.long	538426778                       ; 0x2017bd9a
	.long	491545855                       ; 0x1d4c64ff
	.long	4064663509                      ; 0xf245d7d5
	.long	2788350755                      ; 0xa632db23
	;; [unrolled: 1-line block ×6, first 2 shown]
	.long	845228710                       ; 0x32612aa6
	.long	29883500                        ; 0x1c7fc6c
	.long	1503432309                      ; 0x599c8e75
	.long	593880175                       ; 0x2365e46f
	.long	2488716480                      ; 0x9456ccc0
	.long	828058076                       ; 0x315b29dc
	.long	3287933183                      ; 0xc3f9e0ff
	.long	3510981973                      ; 0xd1455555
	;; [unrolled: 1-line block ×4, first 2 shown]
	.long	898259836                       ; 0x358a5b7c
	.long	2890959433                      ; 0xac508a49
	.long	234437380                       ; 0xdf93b04
	.long	201835406                       ; 0xc07c38e
	.long	1523016285                      ; 0x5ac7625d
	.long	2419577439                      ; 0x9037d25f
	;; [unrolled: 1-line block ×5, first 2 shown]
	.long	533411805                       ; 0x1fcb37dd
	.long	1644926459                      ; 0x620b95fb
	.long	4097374623                      ; 0xf438f99f
	.long	265292490                       ; 0xfd00aca
	.long	2694560848                      ; 0xa09bbc50
	.long	285667083                       ; 0x1106ef0b
	.long	1563945375                      ; 0x5d37e99f
	.long	3128365011                      ; 0xba770fd3
	.long	95277844                        ; 0x5add314
	.long	2938824634                      ; 0xaf2ae7ba
	.long	2717708621                      ; 0xa1fcf14d
	;; [unrolled: 1-line block ×16, first 2 shown]
	.long	474100503                       ; 0x1c423317
	.long	3310048546                      ; 0xc54b5522
	.long	126856999                       ; 0x78faf27
	.long	3144057206                      ; 0xbb668176
	;; [unrolled: 2-line block ×3, first 2 shown]
	.long	343855771                       ; 0x147ed29b
	.long	391118877                       ; 0x1750001d
	.long	1900257963                      ; 0x7143a2ab
	.long	1616289477                      ; 0x60569ec5
	.long	3663959751                      ; 0xda6396c7
	.long	1887891784                      ; 0x7086f148
	.long	697303016                       ; 0x298fffe8
	.long	1346369879                      ; 0x503ff957
	.long	3634838543                      ; 0xd8a73c0f
	.long	909311683                       ; 0x3632fec3
	.long	3534738830                      ; 0xd2afd58e
	.long	2676838865                      ; 0x9f8d51d1
	;; [unrolled: 1-line block ×5, first 2 shown]
	.long	414632197                       ; 0x18b6c905
	.long	199589058                       ; 0xbe57cc2
	.long	2922557451                      ; 0xae32b00b
	.long	3915079510                      ; 0xe95b5f56
	;; [unrolled: 1-line block ×9, first 2 shown]
	.long	915059870                       ; 0x368ab49e
	.long	2410951596                      ; 0x8fb433ac
	.long	1876156254                      ; 0x6fd3df5e
	;; [unrolled: 1-line block ×32, first 2 shown]
	.long	280272261                       ; 0x10b49d85
	.long	3350338577                      ; 0xc7b21c11
	.long	1682666744                      ; 0x644b74f8
	;; [unrolled: 1-line block ×18, first 2 shown]
	.long	168788571                       ; 0xa0f825b
	.long	57021447                        ; 0x3661407
	.long	3888396304                      ; 0xe7c43810
	.long	2218068386                      ; 0x843509a2
	;; [unrolled: 1-line block ×8, first 2 shown]
	.long	145940188                       ; 0x8b2dedc
	.long	4247815717                      ; 0xfd308625
	.long	2995341855                      ; 0xb2894a1f
	.long	2894586378                      ; 0xac87e20a
	.long	1213200792                      ; 0x484ff998
	.long	232910392                       ; 0xde1ee38
	.long	2718014238                      ; 0xa2019b1e
	.long	918321585                       ; 0x36bc79b1
	.long	520434726                       ; 0x1f053426
	.long	3176078796                      ; 0xbd4f1dcc
	.long	937696513                       ; 0x37e41d01
	;; [unrolled: 3-line block ×3, first 2 shown]
	.long	1653323191                      ; 0x628bb5b7
	.long	538426778                       ; 0x2017bd9a
	.long	491545855                       ; 0x1d4c64ff
	.long	4064663509                      ; 0xf245d7d5
	.long	2605358672                      ; 0x9b4a9e50
	;; [unrolled: 1-line block ×7, first 2 shown]
	.long	29883500                        ; 0x1c7fc6c
	.long	1503432309                      ; 0x599c8e75
	.long	593880175                       ; 0x2365e46f
	.long	2488716480                      ; 0x9456ccc0
	.long	1172244224                      ; 0x45df0700
	;; [unrolled: 1-line block ×8, first 2 shown]
	.long	234437380                       ; 0xdf93b04
	.long	201835406                       ; 0xc07c38e
	.long	1523016285                      ; 0x5ac7625d
	.long	1720566850                      ; 0x668dc442
	;; [unrolled: 1-line block ×5, first 2 shown]
	.long	533411805                       ; 0x1fcb37dd
	.long	982587365                       ; 0x3a9117e5
	.long	4097374623                      ; 0xf438f99f
	.long	265292490                       ; 0xfd00aca
	.long	2694560848                      ; 0xa09bbc50
	;; [unrolled: 2-line block ×3, first 2 shown]
	.long	3128365011                      ; 0xba770fd3
	.long	95277844                        ; 0x5add314
	.long	2938824634                      ; 0xaf2ae7ba
	.long	2717708621                      ; 0xa1fcf14d
	.long	262111126                       ; 0xf9f7f96
	.long	3672802273                      ; 0xdaea83e1
	.long	3445399260                      ; 0xcd5c9edc
	;; [unrolled: 1-line block ×4, first 2 shown]
	.long	233401560                       ; 0xde96cd8
	.long	1781057614                      ; 0x6a28c84e
	.long	3491203689                      ; 0xd0178a69
	;; [unrolled: 1-line block ×8, first 2 shown]
	.long	474100503                       ; 0x1c423317
	.long	1150191741                      ; 0x448e887d
	.long	126856999                       ; 0x78faf27
	.long	3144057206                      ; 0xbb668176
	;; [unrolled: 2-line block ×3, first 2 shown]
	.long	84516590                        ; 0x5099eee
	.long	391118877                       ; 0x1750001d
	.long	1900257963                      ; 0x7143a2ab
	.long	1616289477                      ; 0x60569ec5
	;; [unrolled: 1-line block ×4, first 2 shown]
	.long	697303016                       ; 0x298fffe8
	.long	1346369879                      ; 0x503ff957
	.long	3634838543                      ; 0xd8a73c0f
	.long	909311683                       ; 0x3632fec3
	.long	2206291004                      ; 0x8381543c
	.long	2676838865                      ; 0x9f8d51d1
	;; [unrolled: 1-line block ×5, first 2 shown]
	.long	882506847                       ; 0x3499fc5f
	.long	199589058                       ; 0xbe57cc2
	.long	2922557451                      ; 0xae32b00b
	.long	3915079510                      ; 0xe95b5f56
	;; [unrolled: 1-line block ×9, first 2 shown]
	.long	915059870                       ; 0x368ab49e
	.long	2410951596                      ; 0x8fb433ac
	.long	1876156254                      ; 0x6fd3df5e
	.long	2384812180                      ; 0x8e255894
	.long	393602062                       ; 0x1775e40e
	.long	4119002503                      ; 0xf582fd87
	.long	1535078752                      ; 0x5b7f7160
	;; [unrolled: 1-line block ×9, first 2 shown]
	.long	883002610                       ; 0x34a18cf2
	.long	1346396900                      ; 0x504062e4
	.long	4218283385                      ; 0xfb6de579
	;; [unrolled: 1-line block ×18, first 2 shown]
	.long	280272261                       ; 0x10b49d85
	.long	2937342669                      ; 0xaf144acd
	.long	1682666744                      ; 0x644b74f8
	;; [unrolled: 1-line block ×10, first 2 shown]
	.long	610182860                       ; 0x245ea6cc
	.long	3491950269                      ; 0xd022eebd
	.long	1107293753                      ; 0x41fff639
	;; [unrolled: 1-line block ×7, first 2 shown]
	.long	168788571                       ; 0xa0f825b
	.long	57021447                        ; 0x3661407
	.long	2151356582                      ; 0x803b18a6
	.long	2218068386                      ; 0x843509a2
	;; [unrolled: 1-line block ×8, first 2 shown]
	.long	145940188                       ; 0x8b2dedc
	.long	4247815717                      ; 0xfd308625
	.long	1887236689                      ; 0x707cf251
	;; [unrolled: 1-line block ×4, first 2 shown]
	.long	232910392                       ; 0xde1ee38
	.long	2718014238                      ; 0xa2019b1e
	.long	2028538736                      ; 0x78e90b70
	.long	520434726                       ; 0x1f053426
	.long	3176078796                      ; 0xbd4f1dcc
	.long	937696513                       ; 0x37e41d01
	.long	266558688                       ; 0xfe35ce0
	;; [unrolled: 1-line block ×4, first 2 shown]
	.long	1653323191                      ; 0x628bb5b7
	.long	538426778                       ; 0x2017bd9a
	.long	491545855                       ; 0x1d4c64ff
	.long	4188864445                      ; 0xf9acffbd
	.long	2605358672                      ; 0x9b4a9e50
	.long	3941259490                      ; 0xeaead8e2
	.long	3471552693                      ; 0xceebb0b5
	.long	1851151228                      ; 0x6e56537c
	.long	1720039364                      ; 0x6685b7c4
	.long	1290188176                      ; 0x4ce6b590
	.long	29883500                        ; 0x1c7fc6c
	.long	1503432309                      ; 0x599c8e75
	.long	593880175                       ; 0x2365e46f
	.long	2595662526                      ; 0x9ab6aabe
	.long	1172244224                      ; 0x45df0700
	;; [unrolled: 1-line block ×8, first 2 shown]
	.long	234437380                       ; 0xdf93b04
	.long	201835406                       ; 0xc07c38e
	.long	2652280530                      ; 0x9e1696d2
	.long	1720566850                      ; 0x668dc442
	;; [unrolled: 1-line block ×6, first 2 shown]
	.long	982587365                       ; 0x3a9117e5
	.long	4097374623                      ; 0xf438f99f
	.long	265292490                       ; 0xfd00aca
	.long	2694560848                      ; 0xa09bbc50
	.long	1165326939                      ; 0x45757a5b
	;; [unrolled: 1-line block ×4, first 2 shown]
	.long	95277844                        ; 0x5add314
	.long	2938824634                      ; 0xaf2ae7ba
	.long	2521869983                      ; 0x9650ae9f
	.long	262111126                       ; 0xf9f7f96
	.long	3672802273                      ; 0xdaea83e1
	.long	3445399260                      ; 0xcd5c9edc
	;; [unrolled: 1-line block ×3, first 2 shown]
	.long	395183943                       ; 0x178e0747
	.long	233401560                       ; 0xde96cd8
	.long	1781057614                      ; 0x6a28c84e
	.long	3491203689                      ; 0xd0178a69
	;; [unrolled: 1-line block ×3, first 2 shown]
	.long	249721174                       ; 0xee27156
	.long	3314008662                      ; 0xc587c256
	.long	3540412661                      ; 0xd30668f5
	;; [unrolled: 1-line block ×6, first 2 shown]
	.long	126856999                       ; 0x78faf27
	.long	3144057206                      ; 0xbb668176
	.long	917199551                       ; 0x36ab5abf
	.long	1997133400                      ; 0x7709d658
	.long	84516590                        ; 0x5099eee
	.long	391118877                       ; 0x1750001d
	.long	1900257963                      ; 0x7143a2ab
	.long	1616289477                      ; 0x60569ec5
	;; [unrolled: 1-line block ×4, first 2 shown]
	.long	697303016                       ; 0x298fffe8
	.long	1346369879                      ; 0x503ff957
	.long	3634838543                      ; 0xd8a73c0f
	;; [unrolled: 1-line block ×7, first 2 shown]
	.long	344347894                       ; 0x148654f6
	.long	882506847                       ; 0x3499fc5f
	;; [unrolled: 1-line block ×3, first 2 shown]
	.long	2922557451                      ; 0xae32b00b
	.long	3915079510                      ; 0xe95b5f56
	;; [unrolled: 1-line block ×9, first 2 shown]
	.long	915059870                       ; 0x368ab49e
	.long	2410951596                      ; 0x8fb433ac
	.long	1876156254                      ; 0x6fd3df5e
	;; [unrolled: 1-line block ×3, first 2 shown]
	.long	393602062                       ; 0x1775e40e
	.long	4119002503                      ; 0xf582fd87
	.long	1535078752                      ; 0x5b7f7160
	;; [unrolled: 1-line block ×9, first 2 shown]
	.long	883002610                       ; 0x34a18cf2
	.long	1346396900                      ; 0x504062e4
	.long	4218283385                      ; 0xfb6de579
	;; [unrolled: 1-line block ×18, first 2 shown]
	.long	424213503                       ; 0x1948fbff
	.long	2937342669                      ; 0xaf144acd
	.long	1682666744                      ; 0x644b74f8
	;; [unrolled: 1-line block ×4, first 2 shown]
	.long	717473071                       ; 0x2ac3c52f
	.long	3563024742                      ; 0xd45f7166
	.long	3407437449                      ; 0xcb195e89
	;; [unrolled: 1-line block ×5, first 2 shown]
	.long	610182860                       ; 0x245ea6cc
	.long	3491950269                      ; 0xd022eebd
	.long	1107293753                      ; 0x41fff639
	;; [unrolled: 1-line block ×7, first 2 shown]
	.long	168788571                       ; 0xa0f825b
	.long	1401253163                      ; 0x53856d2b
	.long	2151356582                      ; 0x803b18a6
	;; [unrolled: 1-line block ×9, first 2 shown]
	.long	145940188                       ; 0x8b2dedc
	.long	3928146647                      ; 0xea22c2d7
	.long	1887236689                      ; 0x707cf251
	;; [unrolled: 1-line block ×4, first 2 shown]
	.long	232910392                       ; 0xde1ee38
	.long	833120806                       ; 0x31a86a26
	.long	2028538736                      ; 0x78e90b70
	.long	520434726                       ; 0x1f053426
	.long	3176078796                      ; 0xbd4f1dcc
	;; [unrolled: 2-line block ×3, first 2 shown]
	.long	305624632                       ; 0x12377638
	.long	645408471                       ; 0x267826d7
	.long	1653323191                      ; 0x628bb5b7
	.long	538426778                       ; 0x2017bd9a
	.long	939335571                       ; 0x37fd1f93
	.long	4188864445                      ; 0xf9acffbd
	.long	2605358672                      ; 0x9b4a9e50
	;; [unrolled: 1-line block ×7, first 2 shown]
	.long	29883500                        ; 0x1c7fc6c
	.long	1503432309                      ; 0x599c8e75
	.long	524387655                       ; 0x1f418547
	.long	2595662526                      ; 0x9ab6aabe
	.long	1172244224                      ; 0x45df0700
	;; [unrolled: 1-line block ×8, first 2 shown]
	.long	234437380                       ; 0xdf93b04
	.long	3272987579                      ; 0xc315d3bb
	.long	2652280530                      ; 0x9e1696d2
	;; [unrolled: 1-line block ×7, first 2 shown]
	.long	982587365                       ; 0x3a9117e5
	.long	4097374623                      ; 0xf438f99f
	.long	265292490                       ; 0xfd00aca
	.long	1077412791                      ; 0x403803b7
	.long	1165326939                      ; 0x45757a5b
	;; [unrolled: 1-line block ×4, first 2 shown]
	.long	95277844                        ; 0x5add314
	.long	2896038035                      ; 0xac9e0893
	.long	2521869983                      ; 0x9650ae9f
	.long	262111126                       ; 0xf9f7f96
	.long	3672802273                      ; 0xdaea83e1
	.long	3445399260                      ; 0xcd5c9edc
	;; [unrolled: 1-line block ×3, first 2 shown]
	.long	395183943                       ; 0x178e0747
	.long	233401560                       ; 0xde96cd8
	.long	1781057614                      ; 0x6a28c84e
	.long	3491203689                      ; 0xd0178a69
	.long	8343453                         ; 0x7f4f9d
	.long	249721174                       ; 0xee27156
	.long	3314008662                      ; 0xc587c256
	.long	3540412661                      ; 0xd30668f5
	;; [unrolled: 1-line block ×6, first 2 shown]
	.long	126856999                       ; 0x78faf27
	.long	3144057206                      ; 0xbb668176
	.long	65169501                        ; 0x3e2685d
	.long	1997133400                      ; 0x7709d658
	.long	84516590                        ; 0x5099eee
	.long	391118877                       ; 0x1750001d
	.long	1900257963                      ; 0x7143a2ab
	.long	2914085557                      ; 0xadb16ab5
	;; [unrolled: 1-line block ×4, first 2 shown]
	.long	697303016                       ; 0x298fffe8
	.long	1346369879                      ; 0x503ff957
	.long	2007568079                      ; 0x77a90ecf
	;; [unrolled: 1-line block ×7, first 2 shown]
	.long	344347894                       ; 0x148654f6
	.long	882506847                       ; 0x3499fc5f
	;; [unrolled: 1-line block ×3, first 2 shown]
	.long	2922557451                      ; 0xae32b00b
	.long	3740400148                      ; 0xdef1fa14
	;; [unrolled: 1-line block ×6, first 2 shown]
	.long	199560818                       ; 0xbe50e72
	.long	3305575634                      ; 0xc50714d2
	.long	1702669516                      ; 0x657caccc
	.long	915059870                       ; 0x368ab49e
	.long	2410951596                      ; 0x8fb433ac
	.long	117939268                       ; 0x7079c44
	;; [unrolled: 2-line block ×3, first 2 shown]
	.long	4119002503                      ; 0xf582fd87
	.long	1535078752                      ; 0x5b7f7160
	;; [unrolled: 1-line block ×9, first 2 shown]
	.long	883002610                       ; 0x34a18cf2
	.long	1346396900                      ; 0x504062e4
	.long	4218283385                      ; 0xfb6de579
	.long	803910659                       ; 0x2feab403
	.long	1792832168                      ; 0x6adc72a8
	.long	1478839081                      ; 0x58254b29
	;; [unrolled: 1-line block ×15, first 2 shown]
	.long	424213503                       ; 0x1948fbff
	.long	2937342669                      ; 0xaf144acd
	.long	1682666744                      ; 0x644b74f8
	;; [unrolled: 1-line block ×3, first 2 shown]
	.long	713350501                       ; 0x2a84dd65
	.long	717473071                       ; 0x2ac3c52f
	.long	3563024742                      ; 0xd45f7166
	.long	3407437449                      ; 0xcb195e89
	;; [unrolled: 1-line block ×5, first 2 shown]
	.long	610182860                       ; 0x245ea6cc
	.long	3491950269                      ; 0xd022eebd
	.long	1107293753                      ; 0x41fff639
	;; [unrolled: 1-line block ×12, first 2 shown]
	.long	431601500                       ; 0x19b9b75c
	.long	4193143261                      ; 0xf9ee49dd
	.long	2985267149                      ; 0xb1ef8fcd
	;; [unrolled: 1-line block ×4, first 2 shown]
	.long	285960576                       ; 0x110b6980
	.long	81711096                        ; 0x4decff8
	.long	57066962                        ; 0x366c5d2
	.long	2646151573                      ; 0x9db91195
	.long	3692824605                      ; 0xdc1c081d
	.long	485132216                       ; 0x1cea87b8
	.long	2799654118                      ; 0xa6df54e6
	.long	903527523                       ; 0x35dabc63
	.long	1210637484                      ; 0x4828dcac
	.long	3195346614                      ; 0xbe751eb6
	.long	599540837                       ; 0x23bc4465
	.long	1410108963                      ; 0x540c8e23
	.long	3723542120                      ; 0xddf0be68
	;; [unrolled: 1-line block ×4, first 2 shown]
	.long	239736775                       ; 0xe4a17c7
	.long	3946934722                      ; 0xeb4171c2
	.long	420024332                       ; 0x1909100c
	.long	589304817                       ; 0x232013f1
	.long	1331122625                      ; 0x4f5751c1
	.long	4294403247                      ; 0xfff764af
	;; [unrolled: 1-line block ×3, first 2 shown]
	.long	844641869                       ; 0x3258364d
	.long	166387728                       ; 0x9eae010
	.long	4093361096                      ; 0xf3fbbbc8
	.long	2342369656                      ; 0x8b9db978
	;; [unrolled: 1-line block ×10, first 2 shown]
	.long	944649070                       ; 0x384e336e
	.long	3539368342                      ; 0xd2f67996
	.long	199532147                       ; 0xbe49e73
	.long	2707660205                      ; 0xa1639dad
	.long	2258475730                      ; 0x869d9ad2
	.long	771169023                       ; 0x2df71aff
	.long	158544851                       ; 0x97333d3
	;; [unrolled: 1-line block ×3, first 2 shown]
	.long	2002019277                      ; 0x775463cd
	.long	4225148852                      ; 0xfbd6a7b4
	.long	641266809                       ; 0x2638f479
	.long	2133909450                      ; 0x7f30dfca
	.long	330112418                       ; 0x13ad1da2
	.long	1815776319                      ; 0x6c3a8c3f
	.long	1949213618                      ; 0x742ea3b2
	;; [unrolled: 1-line block ×5, first 2 shown]
	.long	468812562                       ; 0x1bf18312
	.long	3226259052                      ; 0xc04cce6c
	.long	199165016                       ; 0xbdf0458
	.long	436679774                       ; 0x1a07345e
	;; [unrolled: 1-line block ×3, first 2 shown]
	.long	1098105661                      ; 0x4173c33d
	.long	68909298                        ; 0x41b78f2
	.long	248572829                       ; 0xed0eb9d
	.long	339224422                       ; 0x14382766
	;; [unrolled: 1-line block ×3, first 2 shown]
	.long	3054752668                      ; 0xb613d39c
	.long	701934162                       ; 0x29d6aa52
	.long	1898925107                      ; 0x712f4c33
	.long	749060575                       ; 0x2ca5c1df
	.long	987950022                       ; 0x3ae2ebc6
	.long	4040401060                      ; 0xf0d3a0a4
	.long	684345838                       ; 0x28ca49ee
	.long	3449205676                      ; 0xcd96b3ac
	.long	2583450513                      ; 0x99fc5391
	.long	433795092                       ; 0x19db3014
	.long	3559011048                      ; 0xd42232e8
	.long	293161429                       ; 0x117949d5
	.long	3947766299                      ; 0xeb4e221b
	.long	3491895171                      ; 0xd0221783
	;; [unrolled: 1-line block ×5, first 2 shown]
	.long	412235874                       ; 0x18923862
	.long	893680794                       ; 0x35447c9a
	.long	2582820523                      ; 0x99f2b6ab
	.long	1514322840                      ; 0x5a42bb98
	;; [unrolled: 1-line block ×8, first 2 shown]
	.long	177760590                       ; 0xa98694e
	.long	2210728920                      ; 0x83c50bd8
	.long	3136345252                      ; 0xbaf0d4a4
	;; [unrolled: 1-line block ×4, first 2 shown]
	.long	86264452                        ; 0x5244a84
	.long	536816704                       ; 0x1fff2c40
	.long	3489051867                      ; 0xcff6b4db
	.long	2161950016                      ; 0x80dcbd40
	;; [unrolled: 1-line block ×9, first 2 shown]
	.long	475697670                       ; 0x1c5a9206
	.long	539253230                       ; 0x202459ee
	.long	1256048653                      ; 0x4addc80d
	.long	3819847913                      ; 0xe3ae40e9
	.long	141216227                       ; 0x86ac9e3
	.long	3888391528                      ; 0xe7c42568
	.long	3567424851                      ; 0xd4a29553
	;; [unrolled: 1-line block ×18, first 2 shown]
	.long	831216291                       ; 0x318b5aa3
	.long	2483460713                      ; 0x94069a69
	.long	2571551493                      ; 0x9946c305
	.long	484276565                       ; 0x1cdd7955
	.long	3173595164                      ; 0xbd29381c
	.long	4177831244                      ; 0xf904a54c
	;; [unrolled: 1-line block ×9, first 2 shown]
	.long	411521312                       ; 0x18875120
	.long	3713786536                      ; 0xdd5be2a8
	.long	4177871972                      ; 0xf9054464
	.long	690465497                       ; 0x2927aad9
	.long	855092147                       ; 0x32f7abb3
	.long	4271606539                      ; 0xfe9b8b0b
	.long	1265108699                      ; 0x4b6806db
	;; [unrolled: 1-line block ×4, first 2 shown]
	.long	670335437                       ; 0x27f481cd
	.long	3099376310                      ; 0xb8bcbab6
	.long	3946436509                      ; 0xeb39d79d
	;; [unrolled: 1-line block ×4, first 2 shown]
	.long	650684252                       ; 0x26c8a75c
	.long	2220445579                      ; 0x84594f8b
	.long	537394374                       ; 0x2007fcc6
	.long	571322423                       ; 0x220db037
	.long	2781663439                      ; 0xa5ccd0cf
	.long	899394682                       ; 0x359bac7a
	.long	364129622                       ; 0x15b42d56
	.long	328438826                       ; 0x1393942a
	.long	1219862153                      ; 0x48b59e89
	.long	830435885                       ; 0x317f722d
	.long	3278649457                      ; 0xc36c3871
	.long	3072225531                      ; 0xb71e70fb
	;; [unrolled: 1-line block ×11, first 2 shown]
	.long	768131803                       ; 0x2dc8c2db
	.long	2713210999                      ; 0xa1b85077
	.long	4004509777                      ; 0xeeaff851
	;; [unrolled: 1-line block ×6, first 2 shown]
	.long	938244439                       ; 0x37ec7957
	.long	4093313692                      ; 0xf3fb029c
	.long	2476002145                      ; 0x9394cb61
	.long	835527260                       ; 0x31cd225c
	.long	2084758949                      ; 0x7c42e5a5
	.long	4223775017                      ; 0xfbc1b129
	.long	91645393                        ; 0x57665d1
	.long	2251723899                      ; 0x8636947b
	.long	3159477758                      ; 0xbc51cdfe
	;; [unrolled: 1-line block ×3, first 2 shown]
	.long	912220875                       ; 0x365f62cb
	.long	1525327655                      ; 0x5aeaa727
	.long	2067948386                      ; 0x7b426362
	;; [unrolled: 1-line block ×3, first 2 shown]
	.long	450235614                       ; 0x1ad60cde
	.long	3945671083                      ; 0xeb2e29ab
	.long	2852189452                      ; 0xaa00f50c
	;; [unrolled: 1-line block ×5, first 2 shown]
	.long	349281154                       ; 0x14d19b82
	.long	19331179                        ; 0x126f86b
	.long	3423301791                      ; 0xcc0b709f
	.long	416995358                       ; 0x18dad81e
	.long	2049170698                      ; 0x7a23dd0a
	.long	684574142                       ; 0x28cdc5be
	.long	3271042138                      ; 0xc2f8245a
	.long	3438668017                      ; 0xccf5e8f1
	;; [unrolled: 1-line block ×8, first 2 shown]
	.long	713144773                       ; 0x2a81b9c5
	.long	3246285450                      ; 0xc17e628a
	.long	2196135622                      ; 0x82e65ec6
	;; [unrolled: 1-line block ×15, first 2 shown]
	.long	308060688                       ; 0x125ca210
	.long	3092946261                      ; 0xb85a9d55
	.long	2725115972                      ; 0xa26df844
	.long	887278263                       ; 0x34e2cab7
	.long	991869336                       ; 0x3b1eb998
	.long	3597899723                      ; 0xd67397cb
	.long	3454505181                      ; 0xcde790dd
	.long	1108269267                      ; 0x420ed8d3
	.long	851855066                       ; 0x32c646da
	.long	1940998002                      ; 0x73b14772
	.long	3539084542                      ; 0xd2f224fe
	.long	3102161424                      ; 0xb8e73a10
	;; [unrolled: 4-line block ×3, first 2 shown]
	.long	4251556311                      ; 0xfd6999d7
	.long	642683738                       ; 0x264e935a
	.long	3035789355                      ; 0xb4f2782b
	.long	1829444044                      ; 0x6d0b19cc
	;; [unrolled: 1-line block ×3, first 2 shown]
	.long	671403403                       ; 0x2804cd8b
	.long	2809844786                      ; 0xa77ad432
	.long	2251172733                      ; 0x862e2b7d
	.long	970188857                       ; 0x39d3e839
	.long	3910072565                      ; 0xe90ef8f5
	.long	1131847479                      ; 0x43769f37
	;; [unrolled: 1-line block ×4, first 2 shown]
	.long	861868157                       ; 0x335f107d
	.long	2811422184                      ; 0xa792e5e8
	.long	3280310458                      ; 0xc38590ba
	;; [unrolled: 1-line block ×5, first 2 shown]
	.long	236680785                       ; 0xe1b7651
	.long	1896103604                      ; 0x71043eb4
	.long	1179896471                      ; 0x4653ca97
	.long	83960622                        ; 0x501232e
	.long	3303129336                      ; 0xc4e1c0f8
	.long	1191373247                      ; 0x4702e9bf
	.long	177898275                       ; 0xa9a8323
	.long	3077388457                      ; 0xb76d38a9
	.long	1022975703                      ; 0x3cf95ed7
	;; [unrolled: 1-line block ×3, first 2 shown]
	.long	8680269                         ; 0x84734d
	.long	3602435630                      ; 0xd6b8ce2e
	.long	1810825915                      ; 0x6bef02bb
	;; [unrolled: 1-line block ×4, first 2 shown]
	.long	483894148                       ; 0x1cd7a384
	.long	2872435038                      ; 0xab35e15e
	.long	2043868156                      ; 0x79d2f3fc
	.long	3038491874                      ; 0xb51bb4e2
	.long	3786518530                      ; 0xe1b1b002
	.long	3606440668                      ; 0xd6f5eadc
	.long	3336713377                      ; 0xc6e234a1
	.long	120183042                       ; 0x729d902
	.long	86901386                        ; 0x52e028a
	.long	2233164457                      ; 0x851b62a9
	.long	2881782972                      ; 0xabc484bc
	;; [unrolled: 1-line block ×5, first 2 shown]
	.long	658184098                       ; 0x273b17a2
	.long	3558825846                      ; 0xd41f5f76
	.long	2386173040                      ; 0x8e3a1c70
	;; [unrolled: 1-line block ×3, first 2 shown]
	.long	551627788                       ; 0x20e12c0c
	.long	2464303444                      ; 0x92e24954
	.long	893474565                       ; 0x35415705
	.long	3277869222                      ; 0xc36050a6
	.long	2852725906                      ; 0xaa092492
	;; [unrolled: 1-line block ×10, first 2 shown]
	.long	955771270                       ; 0x38f7e986
	.long	2106753333                      ; 0x7d928135
	.long	650684252                       ; 0x26c8a75c
	.long	2220445579                      ; 0x84594f8b
	.long	537394374                       ; 0x2007fcc6
	.long	571322423                       ; 0x220db037
	.long	2369694095                      ; 0x8d3ea98f
	.long	899394682                       ; 0x359bac7a
	.long	364129622                       ; 0x15b42d56
	;; [unrolled: 1-line block ×3, first 2 shown]
	.long	1219862153                      ; 0x48b59e89
	.long	4195985755                      ; 0xfa19a95b
	;; [unrolled: 1-line block ×6, first 2 shown]
	.long	2389919                         ; 0x24779f
	.long	1751415553                      ; 0x68647b01
	.long	2034088483                      ; 0x793dba23
	;; [unrolled: 1-line block ×6, first 2 shown]
	.long	768131803                       ; 0x2dc8c2db
	.long	2713210999                      ; 0xa1b85077
	.long	4004509777                      ; 0xeeaff851
	;; [unrolled: 1-line block ×6, first 2 shown]
	.long	938244439                       ; 0x37ec7957
	.long	4263287583                      ; 0xfe1c9b1f
	.long	2476002145                      ; 0x9394cb61
	.long	835527260                       ; 0x31cd225c
	.long	2084758949                      ; 0x7c42e5a5
	.long	4223775017                      ; 0xfbc1b129
	;; [unrolled: 3-line block ×3, first 2 shown]
	.long	2008655575                      ; 0x77b9a6d7
	.long	912220875                       ; 0x365f62cb
	.long	2378803214                      ; 0x8dc9a80e
	.long	2067948386                      ; 0x7b426362
	;; [unrolled: 1-line block ×3, first 2 shown]
	.long	450235614                       ; 0x1ad60cde
	.long	3945671083                      ; 0xeb2e29ab
	.long	4112321452                      ; 0xf51d0bac
	;; [unrolled: 1-line block ×5, first 2 shown]
	.long	349281154                       ; 0x14d19b82
	.long	3834044005                      ; 0xe486de65
	.long	3423301791                      ; 0xcc0b709f
	.long	416995358                       ; 0x18dad81e
	.long	2049170698                      ; 0x7a23dd0a
	.long	684574142                       ; 0x28cdc5be
	.long	3651360887                      ; 0xd9a35877
	.long	3438668017                      ; 0xccf5e8f1
	;; [unrolled: 1-line block ×8, first 2 shown]
	.long	713144773                       ; 0x2a81b9c5
	.long	3246285450                      ; 0xc17e628a
	.long	2485142597                      ; 0x94204445
	;; [unrolled: 1-line block ×15, first 2 shown]
	.long	308060688                       ; 0x125ca210
	.long	592016509                       ; 0x2349747d
	.long	2725115972                      ; 0xa26df844
	.long	887278263                       ; 0x34e2cab7
	.long	991869336                       ; 0x3b1eb998
	.long	3597899723                      ; 0xd67397cb
	.long	819708104                       ; 0x30dbc0c8
	.long	1108269267                      ; 0x420ed8d3
	;; [unrolled: 2-line block ×3, first 2 shown]
	.long	3539084542                      ; 0xd2f224fe
	.long	3156419045                      ; 0xbc2321e5
	.long	965450940                       ; 0x398b9cbc
	.long	1942363226                      ; 0x73c61c5a
	.long	1430246588                      ; 0x553fd4bc
	;; [unrolled: 1-line block ×3, first 2 shown]
	.long	224112021                       ; 0xd5bad95
	.long	642683738                       ; 0x264e935a
	.long	3035789355                      ; 0xb4f2782b
	.long	1829444044                      ; 0x6d0b19cc
	;; [unrolled: 1-line block ×3, first 2 shown]
	.long	314715303                       ; 0x12c22ca7
	.long	2809844786                      ; 0xa77ad432
	.long	2251172733                      ; 0x862e2b7d
	.long	970188857                       ; 0x39d3e839
	.long	3910072565                      ; 0xe90ef8f5
	.long	155628632                       ; 0x946b458
	.long	3397535176                      ; 0xca8245c8
	.long	3290884849                      ; 0xc426eaf1
	.long	861868157                       ; 0x335f107d
	.long	2811422184                      ; 0xa792e5e8
	.long	1847583676                      ; 0x6e1fe3bc
	;; [unrolled: 1-line block ×5, first 2 shown]
	.long	236680785                       ; 0xe1b7651
	.long	3698448762                      ; 0xdc71d97a
	.long	1179896471                      ; 0x4653ca97
	.long	83960622                        ; 0x501232e
	.long	3303129336                      ; 0xc4e1c0f8
	.long	1191373247                      ; 0x4702e9bf
	;; [unrolled: 1-line block ×6, first 2 shown]
	.long	8680269                         ; 0x84734d
	.long	3979982957                      ; 0xed39b86d
	.long	1810825915                      ; 0x6bef02bb
	;; [unrolled: 1-line block ×4, first 2 shown]
	.long	483894148                       ; 0x1cd7a384
	.long	4003402870                      ; 0xee9f1476
	.long	2043868156                      ; 0x79d2f3fc
	.long	3038491874                      ; 0xb51bb4e2
	.long	3786518530                      ; 0xe1b1b002
	.long	3606440668                      ; 0xd6f5eadc
	.long	3062185402                      ; 0xb6853dba
	.long	120183042                       ; 0x729d902
	.long	86901386                        ; 0x52e028a
	.long	2233164457                      ; 0x851b62a9
	.long	2881782972                      ; 0xabc484bc
	;; [unrolled: 1-line block ×5, first 2 shown]
	.long	658184098                       ; 0x273b17a2
	.long	3558825846                      ; 0xd41f5f76
	.long	2121278529                      ; 0x7e702441
	;; [unrolled: 1-line block ×3, first 2 shown]
	.long	551627788                       ; 0x20e12c0c
	.long	2464303444                      ; 0x92e24954
	.long	893474565                       ; 0x35415705
	.long	183176481                       ; 0xaeb0d21
	.long	2852725906                      ; 0xaa092492
	.long	1191310725                      ; 0x4701f585
	;; [unrolled: 1-line block ×4, first 2 shown]
	.long	788617081                       ; 0x2f015779
	.long	2619288187                      ; 0x9c1f2a7b
	.long	3429362702                      ; 0xcc67ec0e
	;; [unrolled: 1-line block ×4, first 2 shown]
	.long	29124108                        ; 0x1bc660c
	.long	2106753333                      ; 0x7d928135
	.long	650684252                       ; 0x26c8a75c
	.long	2220445579                      ; 0x84594f8b
	.long	537394374                       ; 0x2007fcc6
	.long	725338795                       ; 0x2b3bcaab
	.long	2369694095                      ; 0x8d3ea98f
	.long	899394682                       ; 0x359bac7a
	.long	364129622                       ; 0x15b42d56
	;; [unrolled: 1-line block ×3, first 2 shown]
	.long	1727397396                      ; 0x66f5fe14
	.long	4195985755                      ; 0xfa19a95b
	;; [unrolled: 1-line block ×5, first 2 shown]
	.long	583924693                       ; 0x22cdfbd5
	.long	2389919                         ; 0x24779f
	.long	1751415553                      ; 0x68647b01
	.long	2034088483                      ; 0x793dba23
	;; [unrolled: 1-line block ×6, first 2 shown]
	.long	768131803                       ; 0x2dc8c2db
	.long	2713210999                      ; 0xa1b85077
	.long	761144580                       ; 0x2d5e2504
	.long	1955929377                      ; 0x74951d21
	.long	2740991637                      ; 0xa3603695
	;; [unrolled: 1-line block ×4, first 2 shown]
	.long	840696976                       ; 0x321c0490
	.long	4263287583                      ; 0xfe1c9b1f
	.long	2476002145                      ; 0x9394cb61
	.long	835527260                       ; 0x31cd225c
	.long	2084758949                      ; 0x7c42e5a5
	.long	3729075247                      ; 0xde452c2f
	;; [unrolled: 3-line block ×3, first 2 shown]
	.long	2008655575                      ; 0x77b9a6d7
	.long	4127907945                      ; 0xf60ae069
	;; [unrolled: 1-line block ×5, first 2 shown]
	.long	450235614                       ; 0x1ad60cde
	.long	3240776806                      ; 0xc12a5466
	.long	4112321452                      ; 0xf51d0bac
	;; [unrolled: 1-line block ×8, first 2 shown]
	.long	416995358                       ; 0x18dad81e
	.long	2049170698                      ; 0x7a23dd0a
	.long	3913510119                      ; 0xe9436ce7
	;; [unrolled: 1-line block ×6, first 2 shown]
	.long	841590980                       ; 0x3229a8c4
	.long	1022257616                      ; 0x3cee69d0
	.long	3828432892                      ; 0xe4313ffc
	;; [unrolled: 1-line block ×3, first 2 shown]
	.long	713144773                       ; 0x2a81b9c5
	.long	1272133892                      ; 0x4bd33904
	.long	2485142597                      ; 0x94204445
	;; [unrolled: 1-line block ×15, first 2 shown]
	.long	986584939                       ; 0x3ace176b
	.long	592016509                       ; 0x2349747d
	.long	2725115972                      ; 0xa26df844
	.long	887278263                       ; 0x34e2cab7
	.long	991869336                       ; 0x3b1eb998
	.long	2711883653                      ; 0xa1a40f85
	.long	819708104                       ; 0x30dbc0c8
	.long	1108269267                      ; 0x420ed8d3
	;; [unrolled: 2-line block ×3, first 2 shown]
	.long	4050477073                      ; 0xf16d6011
	.long	3156419045                      ; 0xbc2321e5
	.long	965450940                       ; 0x398b9cbc
	.long	1942363226                      ; 0x73c61c5a
	.long	1430246588                      ; 0x553fd4bc
	;; [unrolled: 1-line block ×3, first 2 shown]
	.long	224112021                       ; 0xd5bad95
	.long	642683738                       ; 0x264e935a
	.long	3035789355                      ; 0xb4f2782b
	.long	1829444044                      ; 0x6d0b19cc
	;; [unrolled: 1-line block ×3, first 2 shown]
	.long	314715303                       ; 0x12c22ca7
	.long	2809844786                      ; 0xa77ad432
	.long	2251172733                      ; 0x862e2b7d
	.long	970188857                       ; 0x39d3e839
	.long	3018833494                      ; 0xb3efbe56
	.long	155628632                       ; 0x946b458
	.long	3397535176                      ; 0xca8245c8
	.long	3290884849                      ; 0xc426eaf1
	.long	861868157                       ; 0x335f107d
	.long	2883971818                      ; 0xabe5eaea
	.long	1847583676                      ; 0x6e1fe3bc
	;; [unrolled: 1-line block ×8, first 2 shown]
	.long	83960622                        ; 0x501232e
	.long	3303129336                      ; 0xc4e1c0f8
	.long	2192966710                      ; 0x82b60436
	;; [unrolled: 1-line block ×6, first 2 shown]
	.long	95661399                        ; 0x5b3ad57
	.long	3979982957                      ; 0xed39b86d
	.long	1810825915                      ; 0x6bef02bb
	;; [unrolled: 1-line block ×4, first 2 shown]
	.long	485952375                       ; 0x1cf70b77
	.long	4003402870                      ; 0xee9f1476
	.long	2043868156                      ; 0x79d2f3fc
	;; [unrolled: 1-line block ×4, first 2 shown]
	.long	575288835                       ; 0x224a3603
	.long	3062185402                      ; 0xb6853dba
	.long	120183042                       ; 0x729d902
	.long	86901386                        ; 0x52e028a
	.long	2233164457                      ; 0x851b62a9
	.long	2864966512                      ; 0xaac3eb70
	;; [unrolled: 1-line block ×5, first 2 shown]
	.long	658184098                       ; 0x273b17a2
	.long	2892259673                      ; 0xac646159
	.long	2121278529                      ; 0x7e702441
	;; [unrolled: 1-line block ×3, first 2 shown]
	.long	551627788                       ; 0x20e12c0c
	.long	2464303444                      ; 0x92e24954
	.long	2699734841                      ; 0xa0eaaf39
	.long	183176481                       ; 0xaeb0d21
	.long	2852725906                      ; 0xaa092492
	.long	1191310725                      ; 0x4701f585
	;; [unrolled: 1-line block ×4, first 2 shown]
	.long	788617081                       ; 0x2f015779
	.long	2619288187                      ; 0x9c1f2a7b
	.long	3429362702                      ; 0xcc67ec0e
	;; [unrolled: 1-line block ×4, first 2 shown]
	.long	29124108                        ; 0x1bc660c
	.long	2106753333                      ; 0x7d928135
	.long	650684252                       ; 0x26c8a75c
	.long	2220445579                      ; 0x84594f8b
	.long	978263237                       ; 0x3a4f1cc5
	.long	725338795                       ; 0x2b3bcaab
	.long	2369694095                      ; 0x8d3ea98f
	.long	899394682                       ; 0x359bac7a
	.long	364129622                       ; 0x15b42d56
	.long	3795063930                      ; 0xe234147a
	.long	1727397396                      ; 0x66f5fe14
	;; [unrolled: 1-line block ×6, first 2 shown]
	.long	583924693                       ; 0x22cdfbd5
	.long	2389919                         ; 0x24779f
	.long	1751415553                      ; 0x68647b01
	.long	2034088483                      ; 0x793dba23
	;; [unrolled: 1-line block ×6, first 2 shown]
	.long	768131803                       ; 0x2dc8c2db
	.long	1365857736                      ; 0x516955c8
	.long	761144580                       ; 0x2d5e2504
	.long	1955929377                      ; 0x74951d21
	.long	2740991637                      ; 0xa3603695
	;; [unrolled: 1-line block ×4, first 2 shown]
	.long	840696976                       ; 0x321c0490
	.long	4263287583                      ; 0xfe1c9b1f
	.long	2476002145                      ; 0x9394cb61
	.long	835527260                       ; 0x31cd225c
	.long	76517292                        ; 0x48f8fac
	.long	3729075247                      ; 0xde452c2f
	.long	110659216                       ; 0x6988690
	.long	2251723899                      ; 0x8636947b
	.long	3159477758                      ; 0xbc51cdfe
	;; [unrolled: 1-line block ×16, first 2 shown]
	.long	416995358                       ; 0x18dad81e
	.long	3661322119                      ; 0xda3b5787
	.long	3913510119                      ; 0xe9436ce7
	;; [unrolled: 1-line block ×6, first 2 shown]
	.long	841590980                       ; 0x3229a8c4
	.long	1022257616                      ; 0x3cee69d0
	.long	3828432892                      ; 0xe4313ffc
	;; [unrolled: 1-line block ×8, first 2 shown]
	.long	131877212                       ; 0x7dc495c
	.long	3083851146                      ; 0xb7cfd58a
	.long	2201888000                      ; 0x833e2500
	;; [unrolled: 1-line block ×10, first 2 shown]
	.long	986584939                       ; 0x3ace176b
	.long	592016509                       ; 0x2349747d
	.long	2725115972                      ; 0xa26df844
	.long	887278263                       ; 0x34e2cab7
	.long	3824306591                      ; 0xe3f2499f
	.long	2711883653                      ; 0xa1a40f85
	.long	819708104                       ; 0x30dbc0c8
	.long	1108269267                      ; 0x420ed8d3
	.long	851855066                       ; 0x32c646da
	.long	190839383                       ; 0xb5ffa57
	.long	4050477073                      ; 0xf16d6011
	.long	3156419045                      ; 0xbc2321e5
	.long	965450940                       ; 0x398b9cbc
	.long	1942363226                      ; 0x73c61c5a
	.long	1750931697                      ; 0x685d18f1
	;; [unrolled: 1-line block ×3, first 2 shown]
	.long	224112021                       ; 0xd5bad95
	.long	642683738                       ; 0x264e935a
	.long	3035789355                      ; 0xb4f2782b
	.long	1544088048                      ; 0x5c08e9f0
	;; [unrolled: 1-line block ×3, first 2 shown]
	.long	314715303                       ; 0x12c22ca7
	.long	2809844786                      ; 0xa77ad432
	.long	2251172733                      ; 0x862e2b7d
	;; [unrolled: 1-line block ×4, first 2 shown]
	.long	155628632                       ; 0x946b458
	.long	3397535176                      ; 0xca8245c8
	.long	3290884849                      ; 0xc426eaf1
	;; [unrolled: 1-line block ×11, first 2 shown]
	.long	83960622                        ; 0x501232e
	.long	3849402190                      ; 0xe571374e
	.long	2192966710                      ; 0x82b60436
	;; [unrolled: 1-line block ×6, first 2 shown]
	.long	95661399                        ; 0x5b3ad57
	.long	3979982957                      ; 0xed39b86d
	.long	1810825915                      ; 0x6bef02bb
	;; [unrolled: 1-line block ×4, first 2 shown]
	.long	485952375                       ; 0x1cf70b77
	.long	4003402870                      ; 0xee9f1476
	.long	2043868156                      ; 0x79d2f3fc
	;; [unrolled: 1-line block ×4, first 2 shown]
	.long	575288835                       ; 0x224a3603
	.long	3062185402                      ; 0xb6853dba
	.long	120183042                       ; 0x729d902
	.long	86901386                        ; 0x52e028a
	.long	3129494022                      ; 0xba884a06
	.long	2864966512                      ; 0xaac3eb70
	;; [unrolled: 1-line block ×9, first 2 shown]
	.long	551627788                       ; 0x20e12c0c
	.long	3105369079                      ; 0xb9182bf7
	.long	2699734841                      ; 0xa0eaaf39
	.long	183176481                       ; 0xaeb0d21
	.long	2852725906                      ; 0xaa092492
	.long	1191310725                      ; 0x4701f585
	;; [unrolled: 1-line block ×4, first 2 shown]
	.long	788617081                       ; 0x2f015779
	.long	2619288187                      ; 0x9c1f2a7b
	.long	3429362702                      ; 0xcc67ec0e
	;; [unrolled: 1-line block ×6, first 2 shown]
	.long	114618345                       ; 0x6d4efe9
	.long	2126710176                      ; 0x7ec305a0
	.long	1857709117                      ; 0x6eba643d
	;; [unrolled: 1-line block ×3, first 2 shown]
	.long	304437872                       ; 0x12255a70
	.long	2388303947                      ; 0x8e5aa04b
	.long	1802971382                      ; 0x6b7728f6
	;; [unrolled: 1-line block ×4, first 2 shown]
	.long	593111133                       ; 0x235a285d
	.long	3788847386                      ; 0xe1d5391a
	.long	1479546758                      ; 0x58301786
	;; [unrolled: 1-line block ×3, first 2 shown]
	.long	240996968                       ; 0xe5d5268
	.long	3423191009                      ; 0xcc09bfe1
	.long	2666077260                      ; 0x9ee91c4c
	.long	884572403                       ; 0x34b980f3
	.long	2988847666                      ; 0xb2263232
	.long	928827215                       ; 0x375cc74f
	.long	2549465610                      ; 0x97f5c20a
	.long	2773670136                      ; 0xa552d8f8
	.long	708214104                       ; 0x2a367d58
	.long	2594951780                      ; 0x9aabd264
	.long	1076989709                      ; 0x40318f0d
	;; [unrolled: 1-line block ×7, first 2 shown]
	.long	31664438                        ; 0x1e32936
	.long	951240198                       ; 0x38b2c606
	.long	3676836716                      ; 0xdb28136c
	.long	3633113483                      ; 0xd88ce98b
	;; [unrolled: 1-line block ×3, first 2 shown]
	.long	981784748                       ; 0x3a84d8ac
	.long	1172850762                      ; 0x45e8484a
	.long	3106238289                      ; 0xb9256f51
	.long	3118297408                      ; 0xb9dd7140
	.long	4207023277                      ; 0xfac214ad
	.long	3362324732                      ; 0xc86900fc
	.long	844983306                       ; 0x325d6c0a
	.long	3790928628                      ; 0xe1f4faf4
	.long	4156848237                      ; 0xf7c4786d
	;; [unrolled: 1-line block ×10, first 2 shown]
	.long	120288587                       ; 0x72b754b
	.long	3300482994                      ; 0xc4b95fb2
	.long	4268540970                      ; 0xfe6cc42a
	.long	4183426205                      ; 0xf95a049d
	.long	3572724103                      ; 0xd4f37187
	.long	3287140971                      ; 0xc3edca6b
	.long	3038086532                      ; 0xb5158584
	.long	3210919007                      ; 0xbf62bc5f
	.long	2171998100                      ; 0x81760f94
	.long	3958495101                      ; 0xebf1d77d
	.long	1589679371                      ; 0x5ec0950b
	.long	2880366694                      ; 0xabaee866
	.long	827575211                       ; 0x3153cbab
	.long	1343189406                      ; 0x500f719e
	.long	364332706                       ; 0x15b746a2
	.long	866065087                       ; 0x339f1abf
	.long	33080625                        ; 0x1f8c531
	.long	4284492640                      ; 0xff602b60
	.long	2277479989                      ; 0x87bf9635
	;; [unrolled: 1-line block ×3, first 2 shown]
	.long	430538110                       ; 0x19a97d7e
	.long	3549886335                      ; 0xd396f77f
	.long	3734345920                      ; 0xde9598c0
	;; [unrolled: 1-line block ×3, first 2 shown]
	.long	638033279                       ; 0x26079d7f
	.long	2684714509                      ; 0xa0057e0d
	.long	945721631                       ; 0x385e911f
	.long	49994267                        ; 0x2fada1b
	.long	2394351381                      ; 0x8eb6e715
	.long	1996532760                      ; 0x7700ac18
	;; [unrolled: 1-line block ×5, first 2 shown]
	.long	632454166                       ; 0x25b27c16
	.long	696027759                       ; 0x297c8a6f
	;; [unrolled: 1-line block ×3, first 2 shown]
	.long	1230453723                      ; 0x49573bdb
	.long	4225865813                      ; 0xfbe19855
	;; [unrolled: 1-line block ×10, first 2 shown]
	.long	6970479                         ; 0x6a5c6f
	.long	2936359283                      ; 0xaf054973
	.long	1541124937                      ; 0x5bdbb349
	;; [unrolled: 1-line block ×7, first 2 shown]
	.long	379586757                       ; 0x16a008c5
	.long	2008242014                      ; 0x77b3575e
	.long	1138475935                      ; 0x43dbc39f
	;; [unrolled: 1-line block ×8, first 2 shown]
	.long	374575138                       ; 0x16539022
	.long	730079080                       ; 0x2b841f68
	;; [unrolled: 1-line block ×3, first 2 shown]
	.long	1430552870                      ; 0x55448126
	.long	3860649629                      ; 0xe61cd69d
	.long	541396702                       ; 0x20450ede
	.long	3413070856                      ; 0xcb6f5408
	.long	3052797396                      ; 0xb5f5fdd4
	;; [unrolled: 1-line block ×9, first 2 shown]
	.long	264313861                       ; 0xfc11c05
	.long	881377066                       ; 0x3488bf2a
	.long	4165178494                      ; 0xf843947e
	.long	1069189853                      ; 0x3fba8add
	;; [unrolled: 1-line block ×6, first 2 shown]
	.long	837702541                       ; 0x31ee538d
	.long	2603464957                      ; 0x9b2db8fd
	.long	1548182143                      ; 0x5c47627f
	;; [unrolled: 1-line block ×3, first 2 shown]
	.long	38172869                        ; 0x24678c5
	.long	1949065935                      ; 0x742c62cf
	.long	3628598166                      ; 0xd8480396
	;; [unrolled: 1-line block ×10, first 2 shown]
	.long	597953858                       ; 0x23a40d42
	.long	4082485755                      ; 0xf355c9fb
	.long	3696533122                      ; 0xdc549e82
	;; [unrolled: 1-line block ×3, first 2 shown]
	.long	590004384                       ; 0x232ac0a0
	.long	3025338414                      ; 0xb453002e
	.long	1764374188                      ; 0x692a36ac
	.long	20686172                        ; 0x13ba55c
	.long	932343559                       ; 0x37926f07
	.long	1798441768                      ; 0x6b320b28
	.long	1013577341                      ; 0x3c69f67d
	;; [unrolled: 1-line block ×3, first 2 shown]
	.long	853441141                       ; 0x32de7a75
	.long	1065980978                      ; 0x3f899432
	.long	3665193407                      ; 0xda7669bf
	;; [unrolled: 1-line block ×13, first 2 shown]
	.long	602876448                       ; 0x23ef2a20
	.long	1488163727                      ; 0x58b3938f
	.long	3169015136                      ; 0xbce35560
	.long	832084039                       ; 0x31989847
	.long	81097112                        ; 0x4d57198
	.long	994974428                       ; 0x3b4e1adc
	.long	1945411347                      ; 0x73f49f13
	.long	1020609213                      ; 0x3cd542bd
	;; [unrolled: 1-line block ×11, first 2 shown]
	.long	625422255                       ; 0x25472faf
	.long	3292783340                      ; 0xc443e2ec
	.long	750206381                       ; 0x2cb73dad
	.long	1002246874                      ; 0x3bbd12da
	.long	900879607                       ; 0x35b254f7
	.long	820635221                       ; 0x30e9e655
	.long	3318328110                      ; 0xc5c9ab2e
	.long	3980484559                      ; 0xed415fcf
	;; [unrolled: 1-line block ×12, first 2 shown]
	.long	818806045                       ; 0x30cdfd1d
	.long	3056976418                      ; 0xb635c222
	.long	2337737150                      ; 0x8b5709be
	.long	2061530784                      ; 0x7ae076a0
	.long	1036243443                      ; 0x3dc3d1f3
	.long	2058675708                      ; 0x7ab4e5fc
	.long	1932546035                      ; 0x73304ff3
	.long	1604709219                      ; 0x5fa5eb63
	.long	1317296740                      ; 0x4e845a64
	.long	2505350414                      ; 0x95549d0e
	.long	624826181                       ; 0x253e1745
	.long	2710208816                      ; 0xa18a8130
	.long	2208469912                      ; 0x83a29398
	.long	1930700024                      ; 0x731424f8
	.long	3769953790                      ; 0xe0b4edfe
	.long	2092911082                      ; 0x7cbf49ea
	.long	520309780                       ; 0x1f034c14
	.long	3787727278                      ; 0xe1c421ae
	.long	684095804                       ; 0x28c6793c
	.long	3697683979                      ; 0xdc662e0b
	;; [unrolled: 2-line block ×3, first 2 shown]
	.long	1571375993                      ; 0x5da94b79
	.long	1828801775                      ; 0x6d014cef
	;; [unrolled: 1-line block ×12, first 2 shown]
	.long	324785401                       ; 0x135bd4f9
	.long	2622755198                      ; 0x9c54117e
	.long	1525605325                      ; 0x5aeee3cd
	.long	3280412074                      ; 0xc3871daa
	.long	2453630352                      ; 0x923f6d90
	.long	726090704                       ; 0x2b4743d0
	.long	4170024046                      ; 0xf88d846e
	.long	248003549                       ; 0xec83bdd
	.long	3319518538                      ; 0xc5dbd54a
	.long	1331224401                      ; 0x4f58df51
	;; [unrolled: 1-line block ×5, first 2 shown]
	.long	15303334                        ; 0xe982a6
	.long	267163358                       ; 0xfec96de
	.long	627307819                       ; 0x2563f52b
	;; [unrolled: 1-line block ×3, first 2 shown]
	.long	3691559013                      ; 0xdc08b865
	.long	2491765952                      ; 0x948554c0
	.long	839609873                       ; 0x320b6e11
	.long	1598505629                      ; 0x5f47429d
	.long	3905396753                      ; 0xe8c7a011
	.long	583168080                       ; 0x22c27050
	.long	281403302                       ; 0x10c5dfa6
	.long	1658629464                      ; 0x62dcad58
	.long	1498139453                      ; 0x594bcb3d
	.long	2860737994                      ; 0xaa8365ca
	.long	148007837                       ; 0x8d26b9d
	.long	1439496901                      ; 0x55ccfac5
	.long	3226624586                      ; 0xc052624a
	.long	1708925351                      ; 0x65dc21a7
	;; [unrolled: 4-line block ×3, first 2 shown]
	.long	1286593394                      ; 0x4cafdb72
	.long	2025932254                      ; 0x78c145de
	;; [unrolled: 1-line block ×9, first 2 shown]
	.long	641427670                       ; 0x263b68d6
	.long	450188959                       ; 0x1ad5569f
	.long	1095230428                      ; 0x4147e3dc
	.long	293179001                       ; 0x11798e79
	.long	1293554079                      ; 0x4d1a119f
	.long	3022335608                      ; 0xb4252e78
	.long	610535626                       ; 0x246408ca
	.long	1329467104                      ; 0x4f3e0ee0
	.long	3717935497                      ; 0xdd9b3189
	.long	1252385485                      ; 0x4aa5e2cd
	.long	441595535                       ; 0x1a52368f
	.long	2937045243                      ; 0xaf0fc0fb
	.long	2846877561                      ; 0xa9afe779
	.long	668719121                       ; 0x27dbd811
	.long	3604154741                      ; 0xd6d30975
	.long	1150714166                      ; 0x44968136
	;; [unrolled: 1-line block ×6, first 2 shown]
	.long	377195836                       ; 0x167b8d3c
	.long	2727989292                      ; 0xa299d02c
	.long	2460040634                      ; 0x92a13dba
	;; [unrolled: 1-line block ×3, first 2 shown]
	.long	399050881                       ; 0x17c90881
	.long	3601292788                      ; 0xd6a75df4
	.long	590004384                       ; 0x232ac0a0
	.long	3025338414                      ; 0xb453002e
	.long	1764374188                      ; 0x692a36ac
	.long	20686172                        ; 0x13ba55c
	.long	3576058865                      ; 0xd52653f1
	.long	1798441768                      ; 0x6b320b28
	;; [unrolled: 1-line block ×4, first 2 shown]
	.long	853441141                       ; 0x32de7a75
	.long	3862104007                      ; 0xe63307c7
	.long	3665193407                      ; 0xda7669bf
	;; [unrolled: 1-line block ×10, first 2 shown]
	.long	780594798                       ; 0x2e86ee6e
	.long	2439842864                      ; 0x916d0c30
	.long	2525211849                      ; 0x9683acc9
	.long	602876448                       ; 0x23ef2a20
	.long	1488163727                      ; 0x58b3938f
	.long	642430472                       ; 0x264ab608
	.long	832084039                       ; 0x31989847
	.long	81097112                        ; 0x4d57198
	.long	994974428                       ; 0x3b4e1adc
	.long	1945411347                      ; 0x73f49f13
	.long	2231598766                      ; 0x85037eae
	;; [unrolled: 1-line block ×11, first 2 shown]
	.long	991026264                       ; 0x3b11dc58
	.long	3292783340                      ; 0xc443e2ec
	.long	750206381                       ; 0x2cb73dad
	.long	1002246874                      ; 0x3bbd12da
	;; [unrolled: 2-line block ×3, first 2 shown]
	.long	3318328110                      ; 0xc5c9ab2e
	.long	3980484559                      ; 0xed415fcf
	.long	3924790669                      ; 0xe9ef8d8d
	.long	4260574943                      ; 0xfdf336df
	.long	1964983082                      ; 0x751f432a
	.long	3673068643                      ; 0xdaee9463
	.long	1319175627                      ; 0x4ea105cb
	.long	3620071157                      ; 0xd7c5e6f5
	.long	3914274380                      ; 0xe94f164c
	.long	992141498                       ; 0x3b22e0ba
	.long	1529070914                      ; 0x5b23c542
	.long	1760958838                      ; 0x68f61976
	.long	818806045                       ; 0x30cdfd1d
	.long	3056976418                      ; 0xb635c222
	.long	3295305429                      ; 0xc46a5ed5
	;; [unrolled: 1-line block ×9, first 2 shown]
	.long	624826181                       ; 0x253e1745
	.long	2710208816                      ; 0xa18a8130
	.long	3359715256                      ; 0xc8412fb8
	;; [unrolled: 1-line block ×5, first 2 shown]
	.long	520309780                       ; 0x1f034c14
	.long	1979908015                      ; 0x7602ffaf
	.long	684095804                       ; 0x28c6793c
	.long	3697683979                      ; 0xdc662e0b
	;; [unrolled: 2-line block ×3, first 2 shown]
	.long	3256907235                      ; 0xc22075e3
	.long	1828801775                      ; 0x6d014cef
	.long	3589061974                      ; 0xd5ecbd56
	.long	3016563679                      ; 0xb3cd1bdf
	.long	2026002784                      ; 0x78c25960
	.long	1967781780                      ; 0x7549f794
	.long	2634997537                      ; 0x9d0edf21
	.long	2715287551                      ; 0xa1d7ffff
	.long	1973545003                      ; 0x75a1e82b
	.long	3407971274                      ; 0xcb2183ca
	.long	391604110                       ; 0x1757678e
	.long	2479429785                      ; 0x93c91899
	.long	324785401                       ; 0x135bd4f9
	.long	2622755198                      ; 0x9c54117e
	.long	1525605325                      ; 0x5aeee3cd
	.long	462777294                       ; 0x1b956bce
	.long	2453630352                      ; 0x923f6d90
	.long	726090704                       ; 0x2b4743d0
	;; [unrolled: 2-line block ×3, first 2 shown]
	.long	3125444318                      ; 0xba4a7ede
	.long	1331224401                      ; 0x4f58df51
	;; [unrolled: 1-line block ×6, first 2 shown]
	.long	267163358                       ; 0xfec96de
	.long	627307819                       ; 0x2563f52b
	;; [unrolled: 1-line block ×3, first 2 shown]
	.long	3691559013                      ; 0xdc08b865
	.long	3302305047                      ; 0xc4d52d17
	.long	839609873                       ; 0x320b6e11
	.long	1598505629                      ; 0x5f47429d
	.long	3905396753                      ; 0xe8c7a011
	.long	583168080                       ; 0x22c27050
	.long	1502262581                      ; 0x598ab535
	.long	1658629464                      ; 0x62dcad58
	;; [unrolled: 1-line block ×4, first 2 shown]
	.long	148007837                       ; 0x8d26b9d
	.long	2973368511                      ; 0xb13a00bf
	.long	3226624586                      ; 0xc052624a
	;; [unrolled: 1-line block ×3, first 2 shown]
	.long	195473107                       ; 0xba6aed3
	.long	1150552649                      ; 0x44940a49
	.long	522423348                       ; 0x1f238c34
	.long	1853471286                      ; 0x6e79ba36
	.long	1286593394                      ; 0x4cafdb72
	;; [unrolled: 1-line block ×4, first 2 shown]
	.long	555770116                       ; 0x21206104
	.long	1255226060                      ; 0x4ad13acc
	.long	3482666699                      ; 0xcf9546cb
	;; [unrolled: 1-line block ×4, first 2 shown]
	.long	877073175                       ; 0x34471317
	.long	641427670                       ; 0x263b68d6
	;; [unrolled: 1-line block ×3, first 2 shown]
	.long	1095230428                      ; 0x4147e3dc
	.long	293179001                       ; 0x11798e79
	.long	4216364784                      ; 0xfb509ef0
	.long	3022335608                      ; 0xb4252e78
	.long	610535626                       ; 0x246408ca
	.long	1329467104                      ; 0x4f3e0ee0
	.long	3717935497                      ; 0xdd9b3189
	;; [unrolled: 1-line block ×3, first 2 shown]
	.long	441595535                       ; 0x1a52368f
	.long	2937045243                      ; 0xaf0fc0fb
	.long	2846877561                      ; 0xa9afe779
	.long	668719121                       ; 0x27dbd811
	.long	978801343                       ; 0x3a5752bf
	.long	1150714166                      ; 0x44968136
	.long	1689640190                      ; 0x64b5dcfe
	.long	2219487087                      ; 0x844aaf6f
	.long	2445975095                      ; 0x91ca9e37
	.long	3819595050                      ; 0xe3aa652a
	.long	377195836                       ; 0x167b8d3c
	.long	2727989292                      ; 0xa299d02c
	.long	2460040634                      ; 0x92a13dba
	.long	2910322481                      ; 0xad77ff31
	.long	1200428010                      ; 0x478d13ea
	.long	3601292788                      ; 0xd6a75df4
	;; [unrolled: 6-line block ×3, first 2 shown]
	.long	1013577341                      ; 0x3c69f67d
	.long	4275903797                      ; 0xfedd1d35
	;; [unrolled: 1-line block ×12, first 2 shown]
	.long	817362043                       ; 0x30b7f47b
	.long	780594798                       ; 0x2e86ee6e
	.long	2439842864                      ; 0x916d0c30
	.long	2525211849                      ; 0x9683acc9
	.long	602876448                       ; 0x23ef2a20
	.long	2309049006                      ; 0x89a14aae
	.long	642430472                       ; 0x264ab608
	.long	832084039                       ; 0x31989847
	.long	81097112                        ; 0x4d57198
	.long	994974428                       ; 0x3b4e1adc
	.long	3148197354                      ; 0xbba5adea
	.long	2231598766                      ; 0x85037eae
	;; [unrolled: 1-line block ×5, first 2 shown]
	.long	311769962                       ; 0x12953b6a
	.long	2387524763                      ; 0x8e4ebc9b
	.long	3857547190                      ; 0xe5ed7fb6
	;; [unrolled: 1-line block ×5, first 2 shown]
	.long	991026264                       ; 0x3b11dc58
	.long	3292783340                      ; 0xc443e2ec
	.long	750206381                       ; 0x2cb73dad
	.long	1002246874                      ; 0x3bbd12da
	.long	2904195378                      ; 0xad1a8132
	;; [unrolled: 1-line block ×12, first 2 shown]
	.long	992141498                       ; 0x3b22e0ba
	.long	1529070914                      ; 0x5b23c542
	.long	1760958838                      ; 0x68f61976
	.long	818806045                       ; 0x30cdfd1d
	.long	3002614702                      ; 0xb2f843ae
	.long	3295305429                      ; 0xc46a5ed5
	;; [unrolled: 1-line block ×9, first 2 shown]
	.long	624826181                       ; 0x253e1745
	.long	3042995618                      ; 0xb5606da2
	.long	3359715256                      ; 0xc8412fb8
	;; [unrolled: 1-line block ×7, first 2 shown]
	.long	684095804                       ; 0x28c6793c
	.long	3697683979                      ; 0xdc662e0b
	.long	111440289                       ; 0x6a471a1
	.long	1111193348                      ; 0x423b7704
	.long	3256907235                      ; 0xc22075e3
	.long	1828801775                      ; 0x6d014cef
	.long	3589061974                      ; 0xd5ecbd56
	.long	3016563679                      ; 0xb3cd1bdf
	.long	2203918092                      ; 0x835d1f0c
	.long	1967781780                      ; 0x7549f794
	.long	2634997537                      ; 0x9d0edf21
	.long	2715287551                      ; 0xa1d7ffff
	.long	1973545003                      ; 0x75a1e82b
	.long	17967467                        ; 0x112296b
	.long	391604110                       ; 0x1757678e
	.long	2479429785                      ; 0x93c91899
	.long	324785401                       ; 0x135bd4f9
	.long	2622755198                      ; 0x9c54117e
	.long	3993572289                      ; 0xee0913c1
	.long	462777294                       ; 0x1b956bce
	.long	2453630352                      ; 0x923f6d90
	.long	726090704                       ; 0x2b4743d0
	.long	4170024046                      ; 0xf88d846e
	.long	813760479                       ; 0x3080ffdf
	.long	3125444318                      ; 0xba4a7ede
	.long	1331224401                      ; 0x4f58df51
	;; [unrolled: 1-line block ×6, first 2 shown]
	.long	267163358                       ; 0xfec96de
	.long	627307819                       ; 0x2563f52b
	;; [unrolled: 1-line block ×3, first 2 shown]
	.long	4252461657                      ; 0xfd776a59
	.long	3302305047                      ; 0xc4d52d17
	.long	839609873                       ; 0x320b6e11
	.long	1598505629                      ; 0x5f47429d
	.long	3905396753                      ; 0xe8c7a011
	;; [unrolled: 1-line block ×11, first 2 shown]
	.long	195473107                       ; 0xba6aed3
	.long	1973834367                      ; 0x75a6527f
	.long	522423348                       ; 0x1f238c34
	.long	1853471286                      ; 0x6e79ba36
	.long	1286593394                      ; 0x4cafdb72
	;; [unrolled: 1-line block ×4, first 2 shown]
	.long	555770116                       ; 0x21206104
	.long	1255226060                      ; 0x4ad13acc
	.long	3482666699                      ; 0xcf9546cb
	;; [unrolled: 1-line block ×4, first 2 shown]
	.long	877073175                       ; 0x34471317
	.long	641427670                       ; 0x263b68d6
	;; [unrolled: 1-line block ×3, first 2 shown]
	.long	1095230428                      ; 0x4147e3dc
	.long	710341587                       ; 0x2a56f3d3
	.long	4216364784                      ; 0xfb509ef0
	.long	3022335608                      ; 0xb4252e78
	.long	610535626                       ; 0x246408ca
	.long	1329467104                      ; 0x4f3e0ee0
	.long	262034293                       ; 0xf9e5375
	;; [unrolled: 2-line block ×3, first 2 shown]
	.long	2937045243                      ; 0xaf0fc0fb
	.long	2846877561                      ; 0xa9afe779
	;; [unrolled: 1-line block ×3, first 2 shown]
	.long	978801343                       ; 0x3a5752bf
	.long	1150714166                      ; 0x44968136
	.long	1689640190                      ; 0x64b5dcfe
	.long	2219487087                      ; 0x844aaf6f
	.long	258315233                       ; 0xf6593e1
	.long	3819595050                      ; 0xe3aa652a
	.long	377195836                       ; 0x167b8d3c
	.long	2727989292                      ; 0xa299d02c
	.long	2460040634                      ; 0x92a13dba
	;; [unrolled: 1-line block ×5, first 2 shown]
	.long	590004384                       ; 0x232ac0a0
	.long	3025338414                      ; 0xb453002e
	.long	3487643146                      ; 0xcfe1360a
	;; [unrolled: 1-line block ×17, first 2 shown]
	.long	817362043                       ; 0x30b7f47b
	.long	780594798                       ; 0x2e86ee6e
	.long	2439842864                      ; 0x916d0c30
	.long	2525211849                      ; 0x9683acc9
	;; [unrolled: 1-line block ×4, first 2 shown]
	.long	642430472                       ; 0x264ab608
	.long	832084039                       ; 0x31989847
	.long	81097112                        ; 0x4d57198
	.long	2619711743                      ; 0x9c25a0ff
	.long	3148197354                      ; 0xbba5adea
	;; [unrolled: 1-line block ×6, first 2 shown]
	.long	311769962                       ; 0x12953b6a
	.long	2387524763                      ; 0x8e4ebc9b
	.long	3857547190                      ; 0xe5ed7fb6
	.long	3654577058                      ; 0xd9d46ba2
	.long	2418052942                      ; 0x90208f4e
	.long	1888597091                      ; 0x7091b463
	.long	991026264                       ; 0x3b11dc58
	.long	3292783340                      ; 0xc443e2ec
	.long	750206381                       ; 0x2cb73dad
	.long	2501986418                      ; 0x95214872
	.long	2904195378                      ; 0xad1a8132
	.long	1178067772                      ; 0x4637e33c
	.long	3318328110                      ; 0xc5c9ab2e
	.long	3980484559                      ; 0xed415fcf
	.long	655757623                       ; 0x27161137
	.long	4265386540                      ; 0xfe3ca22c
	.long	1964983082                      ; 0x751f432a
	.long	3673068643                      ; 0xdaee9463
	.long	1319175627                      ; 0x4ea105cb
	.long	1539823819                      ; 0x5bc7d8cb
	.long	1635921454                      ; 0x61822e2e
	.long	992141498                       ; 0x3b22e0ba
	.long	1529070914                      ; 0x5b23c542
	.long	1760958838                      ; 0x68f61976
	;; [unrolled: 1-line block ×20, first 2 shown]
	.long	684095804                       ; 0x28c6793c
	.long	3697683979                      ; 0xdc662e0b
	.long	326641529                       ; 0x13782779
	.long	1111193348                      ; 0x423b7704
	.long	3256907235                      ; 0xc22075e3
	;; [unrolled: 1-line block ×10, first 2 shown]
	.long	17967467                        ; 0x112296b
	.long	391604110                       ; 0x1757678e
	.long	2479429785                      ; 0x93c91899
	.long	324785401                       ; 0x135bd4f9
	.long	3833051255                      ; 0xe477b877
	.long	3993572289                      ; 0xee0913c1
	.long	462777294                       ; 0x1b956bce
	.long	2453630352                      ; 0x923f6d90
	.long	726090704                       ; 0x2b4743d0
	;; [unrolled: 2-line block ×3, first 2 shown]
	.long	3125444318                      ; 0xba4a7ede
	.long	1331224401                      ; 0x4f58df51
	;; [unrolled: 1-line block ×3, first 2 shown]
	.long	728276857                       ; 0x2b689f79
	.long	2528908686                      ; 0x96bc158e
	.long	1610778556                      ; 0x600287bc
	.long	267163358                       ; 0xfec96de
	.long	627307819                       ; 0x2563f52b
	.long	4276734917                      ; 0xfee9cbc5
	.long	4252461657                      ; 0xfd776a59
	;; [unrolled: 1-line block ×3, first 2 shown]
	.long	839609873                       ; 0x320b6e11
	.long	1598505629                      ; 0x5f47429d
	.long	3827653659                      ; 0xe4255c1b
	;; [unrolled: 1-line block ×13, first 2 shown]
	.long	522423348                       ; 0x1f238c34
	.long	1853471286                      ; 0x6e79ba36
	.long	1286593394                      ; 0x4cafdb72
	.long	798364204                       ; 0x2f96122c
	.long	1636839834                      ; 0x6190319a
	.long	555770116                       ; 0x21206104
	.long	1255226060                      ; 0x4ad13acc
	.long	3482666699                      ; 0xcf9546cb
	;; [unrolled: 1-line block ×4, first 2 shown]
	.long	877073175                       ; 0x34471317
	.long	641427670                       ; 0x263b68d6
	;; [unrolled: 1-line block ×3, first 2 shown]
	.long	3502743047                      ; 0xd0c79e07
	.long	710341587                       ; 0x2a56f3d3
	.long	4216364784                      ; 0xfb509ef0
	.long	3022335608                      ; 0xb4252e78
	.long	610535626                       ; 0x246408ca
	.long	2388448039                      ; 0x8e5cd327
	.long	262034293                       ; 0xf9e5375
	;; [unrolled: 2-line block ×3, first 2 shown]
	.long	2937045243                      ; 0xaf0fc0fb
	.long	3028160550                      ; 0xb47e1026
	;; [unrolled: 1-line block ×3, first 2 shown]
	.long	978801343                       ; 0x3a5752bf
	.long	1150714166                      ; 0x44968136
	.long	1689640190                      ; 0x64b5dcfe
	.long	169488023                       ; 0xa1a2e97
	.long	258315233                       ; 0xf6593e1
	.long	3819595050                      ; 0xe3aa652a
	.long	377195836                       ; 0x167b8d3c
	.long	2727989292                      ; 0xa299d02c
	;; [unrolled: 2-line block ×3, first 2 shown]
	.long	1901453576                      ; 0x7155e108
	.long	3312447598                      ; 0xc56ff06e
	;; [unrolled: 1-line block ×7, first 2 shown]
	.long	257110870                       ; 0xf533356
	.long	3118463831                      ; 0xb9dffb57
	.long	1165161057                      ; 0x4572f261
	;; [unrolled: 1-line block ×7, first 2 shown]
	.long	791374320                       ; 0x2f2b69f0
	.long	1015673947                      ; 0x3c89f45b
	.long	4252955786                      ; 0xfd7ef48a
	;; [unrolled: 1-line block ×6, first 2 shown]
	.long	780405105                       ; 0x2e840971
	.long	4059616372                      ; 0xf1f8d474
	.long	503333525                       ; 0x1e004295
	.long	1471514828                      ; 0x57b588cc
	.long	2526848791                      ; 0x969ca717
	.long	607539645                       ; 0x243651bd
	.long	730408454                       ; 0x2b892606
	.long	1574159005                      ; 0x5dd3c29d
	.long	1777808061                      ; 0x69f732bd
	;; [unrolled: 1-line block ×4, first 2 shown]
	.long	878462103                       ; 0x345c4497
	.long	269337411                       ; 0x100dc343
	;; [unrolled: 1-line block ×3, first 2 shown]
	.long	2599590920                      ; 0x9af29c08
	.long	4206153248                      ; 0xfab4ce20
	.long	939121991                       ; 0x37f9dd47
	.long	3061289971                      ; 0xb67793f3
	.long	2543431563                      ; 0x9799af8b
	;; [unrolled: 1-line block ×4, first 2 shown]
	.long	77300347                        ; 0x49b827b
	.long	3222569207                      ; 0xc01480f7
	.long	3882064339                      ; 0xe76399d3
	;; [unrolled: 1-line block ×3, first 2 shown]
	.long	289098227                       ; 0x113b49f3
	.long	3934209124                      ; 0xea7f4464
	.long	2407620042                      ; 0x8f815dca
	;; [unrolled: 1-line block ×4, first 2 shown]
	.long	115993752                       ; 0x6e9ec98
	.long	2545688211                      ; 0x97bc1e93
	.long	774350907                       ; 0x2e27a83b
	.long	939749505                       ; 0x38037081
	.long	2242588062                      ; 0x85ab2d9e
	.long	960853876                       ; 0x39457774
	.long	296665594                       ; 0x11aec1fa
	.long	1367312411                      ; 0x517f881b
	.long	3370351589                      ; 0xc8e37be5
	.long	711706404                       ; 0x2a6bc724
	.long	3331136631                      ; 0xc68d1c77
	.long	1370376958                      ; 0x51ae4afe
	.long	2322438166                      ; 0x8a6d9816
	.long	577115138                       ; 0x22661402
	.long	1472236592                      ; 0x57c08c30
	.long	4029835216                      ; 0xf03267d0
	;; [unrolled: 1-line block ×11, first 2 shown]
	.long	710165871                       ; 0x2a54456f
	.long	763101711                       ; 0x2d7c020f
	;; [unrolled: 1-line block ×4, first 2 shown]
	.long	2517020147                      ; 0x9606adf3
	.long	1801290767                      ; 0x6b5d840f
	;; [unrolled: 1-line block ×7, first 2 shown]
	.long	919816752                       ; 0x36d34a30
	.long	375872647                       ; 0x16675c87
	.long	3236906236                      ; 0xc0ef44fc
	.long	1504223782                      ; 0x59a8a226
	.long	128306943                       ; 0x7a5ceff
	.long	1355826533                      ; 0x50d04565
	.long	2656243649                      ; 0x9e530fc1
	.long	390454690                       ; 0x1745dda2
	.long	3848250363                      ; 0xe55fa3fb
	.long	377480950                       ; 0x167fe6f6
	.long	358651174                       ; 0x15609526
	.long	1337795904                      ; 0x4fbd2540
	.long	1925462532                      ; 0x72c43a04
	;; [unrolled: 1-line block ×3, first 2 shown]
	.long	173144626                       ; 0xa51fa32
	.long	886649902                       ; 0x34d9342e
	;; [unrolled: 1-line block ×5, first 2 shown]
	.long	4033430386                      ; 0xf0694372
	.long	1409945926                      ; 0x540a1146
	;; [unrolled: 1-line block ×5, first 2 shown]
	.long	615486157                       ; 0x24af92cd
	.long	720696019                       ; 0x2af4f2d3
	.long	1730134434                      ; 0x671fc1a2
	.long	3918468503                      ; 0xe98f1597
	;; [unrolled: 1-line block ×4, first 2 shown]
	.long	325852294                       ; 0x136c1c86
	.long	234479771                       ; 0xdf9e09b
	.long	1490297289                      ; 0x58d421c9
	.long	3579002992                      ; 0xd5534070
	;; [unrolled: 1-line block ×3, first 2 shown]
	.long	139386548                       ; 0x84edeb4
	.long	3067789050                      ; 0xb6dabefa
	.long	2078261059                      ; 0x7bdfbf43
	;; [unrolled: 1-line block ×13, first 2 shown]
	.long	550278868                       ; 0x20cc96d4
	.long	3324775634                      ; 0xc62c0cd2
	.long	384537301                       ; 0x16eb92d5
	.long	1019044102                      ; 0x3cbd6106
	.long	3354263542                      ; 0xc7edfff6
	.long	1942540686                      ; 0x73c8d18e
	.long	922714337                       ; 0x36ff80e1
	.long	3097711558                      ; 0xb8a353c6
	.long	3074228403                      ; 0xb73d00b3
	;; [unrolled: 1-line block ×8, first 2 shown]
	.long	58778130                        ; 0x380e212
	.long	1651798895                      ; 0x6274736f
	.long	1752063480                      ; 0x686e5df8
	;; [unrolled: 1-line block ×6, first 2 shown]
	.long	576106282                       ; 0x2256af2a
	.long	2238958298                      ; 0x8573cada
	.long	2073551095                      ; 0x7b97e0f7
	.long	624788087                       ; 0x253d8277
	.long	4231569260                      ; 0xfc389f6c
	.long	1853272808                      ; 0x6e76b2e8
	.long	238274694                       ; 0xe33c886
	.long	2389334758                      ; 0x8e6a5ae6
	.long	410188028                       ; 0x1872f8fc
	.long	2293786099                      ; 0x88b865f3
	.long	4243662908                      ; 0xfcf1283c
	.long	2317700970                      ; 0x8a254f6a
	.long	4050493361                      ; 0xf16d9fb1
	.long	2348206908                      ; 0x8bf6cb3c
	.long	485250660                       ; 0x1cec5664
	.long	1212732903                      ; 0x4848d5e7
	.long	169414736                       ; 0xa191050
	.long	292623762                       ; 0x11711592
	.long	1602229231                      ; 0x5f8013ef
	.long	2466348869                      ; 0x93017f45
	;; [unrolled: 1-line block ×6, first 2 shown]
	.long	162521682                       ; 0x9afe252
	.long	1470651713                      ; 0x57a85d41
	.long	4036975255                      ; 0xf09f5a97
	;; [unrolled: 1-line block ×6, first 2 shown]
	.long	35940353                        ; 0x2246801
	.long	78593759                        ; 0x4af3edf
	.long	1565950713                      ; 0x5d5682f9
	.long	1304303952                      ; 0x4dbe1950
	;; [unrolled: 1-line block ×5, first 2 shown]
	.long	789915977                       ; 0x2f152949
	.long	2567452041                      ; 0x99083589
	.long	3564175714                      ; 0xd4710162
	;; [unrolled: 1-line block ×4, first 2 shown]
	.long	22377452                        ; 0x15573ec
	.long	455201131                       ; 0x1b21d16b
	.long	3340286965                      ; 0xc718bbf5
	.long	184599544                       ; 0xb00c3f8
	.long	4102076073                      ; 0xf480b6a9
	.long	4007870762                      ; 0xeee3412a
	.long	1470247063                      ; 0x57a23097
	.long	1579231003                      ; 0x5e21271b
	.long	3544385556                      ; 0xd3430814
	.long	3408973464                      ; 0xcb30ce98
	.long	3759098465                      ; 0xe00f4a61
	.long	3243598964                      ; 0xc1556474
	.long	532452279                       ; 0x1fbc93b7
	.long	1172265732                      ; 0x45df5b04
	.long	3520978258                      ; 0xd1dddd52
	;; [unrolled: 1-line block ×3, first 2 shown]
	.long	41188252                        ; 0x2747b9c
	.long	1663974668                      ; 0x632e3d0c
	.long	3444236420                      ; 0xcd4ae084
	.long	338981290                       ; 0x143471aa
	.long	2140558860                      ; 0x7f96560c
	.long	3310465688                      ; 0xc551b298
	.long	552673362                       ; 0x20f12052
	.long	3277110106                      ; 0xc354bb5a
	.long	948036400                       ; 0x3881e330
	.long	1346056406                      ; 0x503b30d6
	.long	3257468427                      ; 0xc229060b
	;; [unrolled: 1-line block ×9, first 2 shown]
	.long	535899902                       ; 0x1ff12efe
	.long	665898223                       ; 0x27b0ccef
	.long	1456499692                      ; 0x56d06bec
	.long	354208792                       ; 0x151ccc18
	.long	247894771                       ; 0xec692f3
	.long	2093316680                      ; 0x7cc57a48
	.long	2945209002                      ; 0xaf8c52aa
	;; [unrolled: 1-line block ×3, first 2 shown]
	.long	976007759                       ; 0x3a2cb24f
	.long	394966955                       ; 0x178ab7ab
	.long	1843302845                      ; 0x6dde91bd
	.long	3689202777                      ; 0xdbe4c459
	;; [unrolled: 1-line block ×5, first 2 shown]
	.long	667526747                       ; 0x27c9a65b
	.long	2313963966                      ; 0x89ec49be
	.long	3519400667                      ; 0xd1c5cadb
	;; [unrolled: 1-line block ×5, first 2 shown]
	.long	892260481                       ; 0x352ed081
	.long	3547254358                      ; 0xd36ece56
	.long	1540409404                      ; 0x5bd0c83c
	;; [unrolled: 1-line block ×4, first 2 shown]
	.long	546406228                       ; 0x20917f54
	.long	2167638865                      ; 0x81338b51
	.long	4234783150                      ; 0xfc69a9ae
	.long	806401261                       ; 0x3010b4ed
	.long	1351195286                      ; 0x50899a96
	.long	1085913868                      ; 0x40b9bb0c
	;; [unrolled: 1-line block ×5, first 2 shown]
	.long	239430641                       ; 0xe456bf1
	.long	3971361190                      ; 0xecb629a6
	.long	383932711                       ; 0x16e25927
	.long	149541490                       ; 0x8e9d272
	;; [unrolled: 1-line block ×5, first 2 shown]
	.long	1708559652                      ; 0x65d68d24
	.long	3196290573                      ; 0xbe83860d
	;; [unrolled: 1-line block ×13, first 2 shown]
	.long	411564772                       ; 0x1887fae4
	.long	2408049547                      ; 0x8f87eb8b
	.long	1215342690                      ; 0x4870a862
	.long	1707182109                      ; 0x65c1881d
	.long	774540619                       ; 0x2e2a8d4b
	.long	1613606757                      ; 0x602daf65
	.long	836141085                       ; 0x31d6801d
	.long	1061962136                      ; 0x3f4c4198
	;; [unrolled: 2-line block ×3, first 2 shown]
	.long	3526215991                      ; 0xd22dc937
	.long	2708801073                      ; 0xa1750631
	;; [unrolled: 1-line block ×3, first 2 shown]
	.long	472234793                       ; 0x1c25bb29
	.long	3944263763                      ; 0xeb18b053
	.long	1782219410                      ; 0x6a3a8292
	.long	502724699                       ; 0x1df6f85b
	.long	3525703395                      ; 0xd225f6e3
	.long	1756411033                      ; 0x68b0b499
	;; [unrolled: 1-line block ×6, first 2 shown]
	.long	628617330                       ; 0x2577f072
	.long	1553932236                      ; 0x5c9f1fcc
	.long	1974037630                      ; 0x75a96c7e
	.long	2090519666                      ; 0x7c9acc72
	.long	2185028543                      ; 0x823ce3bf
	.long	1978406995                      ; 0x75ec1853
	.long	576106282                       ; 0x2256af2a
	.long	2238958298                      ; 0x8573cada
	.long	2073551095                      ; 0x7b97e0f7
	.long	638634424                       ; 0x2610c9b8
	.long	4231569260                      ; 0xfc389f6c
	.long	1853272808                      ; 0x6e76b2e8
	.long	238274694                       ; 0xe33c886
	.long	2389334758                      ; 0x8e6a5ae6
	.long	3808551433                      ; 0xe301e209
	.long	2293786099                      ; 0x88b865f3
	.long	4243662908                      ; 0xfcf1283c
	;; [unrolled: 1-line block ×4, first 2 shown]
	.long	957981276                       ; 0x3919a25c
	.long	485250660                       ; 0x1cec5664
	.long	1212732903                      ; 0x4848d5e7
	.long	169414736                       ; 0xa191050
	.long	292623762                       ; 0x11711592
	.long	1956197178                      ; 0x7499333a
	.long	2466348869                      ; 0x93017f45
	;; [unrolled: 1-line block ×6, first 2 shown]
	.long	162521682                       ; 0x9afe252
	.long	1470651713                      ; 0x57a85d41
	.long	4036975255                      ; 0xf09f5a97
	;; [unrolled: 1-line block ×6, first 2 shown]
	.long	35940353                        ; 0x2246801
	.long	78593759                        ; 0x4af3edf
	.long	1648686849                      ; 0x6244f701
	.long	1304303952                      ; 0x4dbe1950
	;; [unrolled: 1-line block ×11, first 2 shown]
	.long	455201131                       ; 0x1b21d16b
	.long	3340286965                      ; 0xc718bbf5
	.long	184599544                       ; 0xb00c3f8
	.long	4102076073                      ; 0xf480b6a9
	.long	2685677331                      ; 0xa0142f13
	;; [unrolled: 1-line block ×8, first 2 shown]
	.long	532452279                       ; 0x1fbc93b7
	.long	1172265732                      ; 0x45df5b04
	.long	3520978258                      ; 0xd1dddd52
	.long	531684354                       ; 0x1fb0dc02
	.long	41188252                        ; 0x2747b9c
	.long	1663974668                      ; 0x632e3d0c
	.long	3444236420                      ; 0xcd4ae084
	.long	338981290                       ; 0x143471aa
	.long	1286622338                      ; 0x4cb04c82
	.long	3310465688                      ; 0xc551b298
	.long	552673362                       ; 0x20f12052
	.long	3277110106                      ; 0xc354bb5a
	.long	948036400                       ; 0x3881e330
	.long	2987864230                      ; 0xb21730a6
	.long	3257468427                      ; 0xc229060b
	;; [unrolled: 1-line block ×9, first 2 shown]
	.long	535899902                       ; 0x1ff12efe
	.long	3288883992                      ; 0xc4086318
	.long	1456499692                      ; 0x56d06bec
	.long	354208792                       ; 0x151ccc18
	.long	247894771                       ; 0xec692f3
	.long	2093316680                      ; 0x7cc57a48
	.long	3775770224                      ; 0xe10dae70
	.long	1029298544                      ; 0x3d59d970
	.long	976007759                       ; 0x3a2cb24f
	.long	394966955                       ; 0x178ab7ab
	.long	1843302845                      ; 0x6dde91bd
	.long	1484214934                      ; 0x58775296
	;; [unrolled: 1-line block ×5, first 2 shown]
	.long	667526747                       ; 0x27c9a65b
	.long	3708951530                      ; 0xdd121bea
	.long	3519400667                      ; 0xd1c5cadb
	;; [unrolled: 1-line block ×10, first 2 shown]
	.long	181641144                       ; 0xad39fb8
	.long	2167638865                      ; 0x81338b51
	.long	4234783150                      ; 0xfc69a9ae
	.long	806401261                       ; 0x3010b4ed
	.long	1351195286                      ; 0x50899a96
	.long	3457819598                      ; 0xce1a23ce
	;; [unrolled: 1-line block ×5, first 2 shown]
	.long	239430641                       ; 0xe456bf1
	.long	4037392309                      ; 0xf0a5b7b5
	.long	383932711                       ; 0x16e25927
	.long	149541490                       ; 0x8e9d272
	;; [unrolled: 1-line block ×4, first 2 shown]
	.long	1724276622                      ; 0x66c65f8e
	.long	1708559652                      ; 0x65d68d24
	;; [unrolled: 1-line block ×10, first 2 shown]
	.long	149872004                       ; 0x8eedd84
	.long	1087345822                      ; 0x40cf949e
	.long	2292802521                      ; 0x88a963d9
	.long	3500230819                      ; 0xd0a148a3
	.long	411564772                       ; 0x1887fae4
	.long	4068437023                      ; 0xf27f6c1f
	.long	1215342690                      ; 0x4870a862
	.long	1707182109                      ; 0x65c1881d
	;; [unrolled: 4-line block ×4, first 2 shown]
	.long	3467537935                      ; 0xceae6e0f
	.long	472234793                       ; 0x1c25bb29
	.long	3944263763                      ; 0xeb18b053
	.long	1782219410                      ; 0x6a3a8292
	;; [unrolled: 1-line block ×9, first 2 shown]
	.long	628617330                       ; 0x2577f072
	.long	1553932236                      ; 0x5c9f1fcc
	.long	1974037630                      ; 0x75a96c7e
	;; [unrolled: 1-line block ×5, first 2 shown]
	.long	576106282                       ; 0x2256af2a
	.long	2238958298                      ; 0x8573cada
	.long	3877268821                      ; 0xe71a6d55
	.long	638634424                       ; 0x2610c9b8
	.long	4231569260                      ; 0xfc389f6c
	.long	1853272808                      ; 0x6e76b2e8
	;; [unrolled: 3-line block ×3, first 2 shown]
	.long	2293786099                      ; 0x88b865f3
	.long	4243662908                      ; 0xfcf1283c
	;; [unrolled: 1-line block ×4, first 2 shown]
	.long	957981276                       ; 0x3919a25c
	.long	485250660                       ; 0x1cec5664
	.long	1212732903                      ; 0x4848d5e7
	.long	169414736                       ; 0xa191050
	.long	1333246101                      ; 0x4f77b895
	.long	1956197178                      ; 0x7499333a
	.long	2466348869                      ; 0x93017f45
	.long	3063669700                      ; 0xb69be3c4
	.long	1872890881                      ; 0x6fa20c01
	.long	3662049503                      ; 0xda4670df
	.long	1162224455                      ; 0x45462347
	.long	162521682                       ; 0x9afe252
	.long	1470651713                      ; 0x57a85d41
	.long	4036975255                      ; 0xf09f5a97
	;; [unrolled: 1-line block ×6, first 2 shown]
	.long	35940353                        ; 0x2246801
	.long	2530174792                      ; 0x96cf6748
	.long	1648686849                      ; 0x6244f701
	;; [unrolled: 1-line block ×12, first 2 shown]
	.long	455201131                       ; 0x1b21d16b
	.long	3340286965                      ; 0xc718bbf5
	.long	184599544                       ; 0xb00c3f8
	.long	486448047                       ; 0x1cfe9baf
	.long	2685677331                      ; 0xa0142f13
	.long	1470247063                      ; 0x57a23097
	;; [unrolled: 1-line block ×7, first 2 shown]
	.long	532452279                       ; 0x1fbc93b7
	.long	1172265732                      ; 0x45df5b04
	.long	3373048034                      ; 0xc90ca0e2
	.long	531684354                       ; 0x1fb0dc02
	.long	41188252                        ; 0x2747b9c
	.long	1663974668                      ; 0x632e3d0c
	.long	3444236420                      ; 0xcd4ae084
	;; [unrolled: 1-line block ×5, first 2 shown]
	.long	552673362                       ; 0x20f12052
	.long	3277110106                      ; 0xc354bb5a
	.long	655980467                       ; 0x271977b3
	.long	2987864230                      ; 0xb21730a6
	.long	3257468427                      ; 0xc229060b
	;; [unrolled: 1-line block ×4, first 2 shown]
	.long	763995173                       ; 0x2d89a425
	.long	2613137548                      ; 0x9bc1508c
	.long	3025695322                      ; 0xb458725a
	;; [unrolled: 1-line block ×7, first 2 shown]
	.long	354208792                       ; 0x151ccc18
	.long	247894771                       ; 0xec692f3
	.long	3440471938                      ; 0xcd116f82
	.long	3775770224                      ; 0xe10dae70
	;; [unrolled: 1-line block ×3, first 2 shown]
	.long	976007759                       ; 0x3a2cb24f
	.long	394966955                       ; 0x178ab7ab
	.long	3298245949                      ; 0xc4973d3d
	.long	1484214934                      ; 0x58775296
	;; [unrolled: 1-line block ×16, first 2 shown]
	.long	181641144                       ; 0xad39fb8
	.long	2167638865                      ; 0x81338b51
	.long	4234783150                      ; 0xfc69a9ae
	.long	806401261                       ; 0x3010b4ed
	.long	1627904858                      ; 0x6107db5a
	.long	3457819598                      ; 0xce1a23ce
	;; [unrolled: 1-line block ×7, first 2 shown]
	.long	383932711                       ; 0x16e25927
	.long	149541490                       ; 0x8e9d272
	;; [unrolled: 1-line block ×4, first 2 shown]
	.long	1724276622                      ; 0x66c65f8e
	.long	1708559652                      ; 0x65d68d24
	;; [unrolled: 1-line block ×10, first 2 shown]
	.long	149872004                       ; 0x8eedd84
	.long	1087345822                      ; 0x40cf949e
	.long	2292802521                      ; 0x88a963d9
	;; [unrolled: 1-line block ×7, first 2 shown]
	.long	774540619                       ; 0x2e2a8d4b
	.long	2466902579                      ; 0x9309f233
	.long	1062624488                      ; 0x3f565ce8
	;; [unrolled: 1-line block ×3, first 2 shown]
	.long	348765795                       ; 0x14c9be63
	.long	2852610966                      ; 0xaa076396
	.long	355211123                       ; 0x152c1773
	.long	1518538195                      ; 0x5a830dd3
	.long	3467537935                      ; 0xceae6e0f
	.long	472234793                       ; 0x1c25bb29
	.long	3944263763                      ; 0xeb18b053
	.long	3159176627                      ; 0xbc4d35b3
	.long	1835413488                      ; 0x6d662ff0
	.long	3525703395                      ; 0xd225f6e3
	.long	1756411033                      ; 0x68b0b499
	.long	1358811278                      ; 0x50fdd08e
	.long	2153206130                      ; 0x80575172
	.long	1054245423                      ; 0x3ed6822f
	.long	3259537961                      ; 0xc2489a29
	.long	628617330                       ; 0x2577f072
	.long	1553932236                      ; 0x5c9f1fcc
	.long	1741202495                      ; 0x67c8a43f
	;; [unrolled: 1-line block ×5, first 2 shown]
	.long	576106282                       ; 0x2256af2a
	.long	2832311581                      ; 0xa8d1a51d
	.long	3877268821                      ; 0xe71a6d55
	.long	638634424                       ; 0x2610c9b8
	.long	4231569260                      ; 0xfc389f6c
	.long	1853272808                      ; 0x6e76b2e8
	;; [unrolled: 1-line block ×9, first 2 shown]
	.long	957981276                       ; 0x3919a25c
	.long	485250660                       ; 0x1cec5664
	.long	1212732903                      ; 0x4848d5e7
	.long	3214649174                      ; 0xbf9ba756
	;; [unrolled: 1-line block ×9, first 2 shown]
	.long	162521682                       ; 0x9afe252
	.long	1470651713                      ; 0x57a85d41
	.long	3563435961                      ; 0xd465b7b9
	;; [unrolled: 1-line block ×19, first 2 shown]
	.long	455201131                       ; 0x1b21d16b
	.long	3340286965                      ; 0xc718bbf5
	.long	3795860292                      ; 0xe2403b44
	.long	486448047                       ; 0x1cfe9baf
	.long	2685677331                      ; 0xa0142f13
	.long	1470247063                      ; 0x57a23097
	;; [unrolled: 1-line block ×7, first 2 shown]
	.long	532452279                       ; 0x1fbc93b7
	.long	2740401823                      ; 0xa357369f
	.long	3373048034                      ; 0xc90ca0e2
	.long	531684354                       ; 0x1fb0dc02
	.long	41188252                        ; 0x2747b9c
	.long	1663974668                      ; 0x632e3d0c
	.long	1239982773                      ; 0x49e8a2b5
	;; [unrolled: 1-line block ×5, first 2 shown]
	.long	552673362                       ; 0x20f12052
	.long	2159084435                      ; 0x80b10393
	.long	655980467                       ; 0x271977b3
	.long	2987864230                      ; 0xb21730a6
	.long	3257468427                      ; 0xc229060b
	;; [unrolled: 1-line block ×4, first 2 shown]
	.long	763995173                       ; 0x2d89a425
	.long	2613137548                      ; 0x9bc1508c
	.long	3025695322                      ; 0xb458725a
	;; [unrolled: 1-line block ×7, first 2 shown]
	.long	354208792                       ; 0x151ccc18
	.long	1648970767                      ; 0x62494c0f
	.long	3440471938                      ; 0xcd116f82
	;; [unrolled: 1-line block ×4, first 2 shown]
	.long	976007759                       ; 0x3a2cb24f
	.long	292829454                       ; 0x1174390e
	.long	3298245949                      ; 0xc4973d3d
	.long	1484214934                      ; 0x58775296
	;; [unrolled: 1-line block ×4, first 2 shown]
	.long	949984087                       ; 0x389f9b57
	.long	3788558253                      ; 0xe1d0cfad
	.long	3708951530                      ; 0xdd121bea
	.long	3519400667                      ; 0xd1c5cadb
	.long	1548274317                      ; 0x5c48ca8d
	.long	3691975282                      ; 0xdc0f1272
	.long	3117201719                      ; 0xb9ccb937
	.long	3457725296                      ; 0xce18b370
	.long	3547254358                      ; 0xd36ece56
	.long	1540409404                      ; 0x5bd0c83c
	.long	3414085332                      ; 0xcb7eced4
	.long	3871454027                      ; 0xe6c1b34b
	.long	181641144                       ; 0xad39fb8
	.long	2167638865                      ; 0x81338b51
	.long	4234783150                      ; 0xfc69a9ae
	.long	487427004                       ; 0x1d0d8bbc
	.long	1627904858                      ; 0x6107db5a
	.long	3457819598                      ; 0xce1a23ce
	;; [unrolled: 1-line block ×7, first 2 shown]
	.long	383932711                       ; 0x16e25927
	.long	149541490                       ; 0x8e9d272
	;; [unrolled: 1-line block ×4, first 2 shown]
	.long	1724276622                      ; 0x66c65f8e
	.long	1708559652                      ; 0x65d68d24
	;; [unrolled: 1-line block ×10, first 2 shown]
	.long	149872004                       ; 0x8eedd84
	.long	1087345822                      ; 0x40cf949e
	.long	2292802521                      ; 0x88a963d9
	.long	3257357826                      ; 0xc2275602
	.long	3055410013                      ; 0xb61ddb5d
	.long	4068437023                      ; 0xf27f6c1f
	.long	1215342690                      ; 0x4870a862
	.long	1707182109                      ; 0x65c1881d
	.long	1101368233                      ; 0x41a58ba9
	.long	2466902579                      ; 0x9309f233
	.long	1062624488                      ; 0x3f565ce8
	.long	1061962136                      ; 0x3f4c4198
	.long	348765795                       ; 0x14c9be63
	.long	377675640                       ; 0x1682df78
	;; [unrolled: 1-line block ×3, first 2 shown]
	.long	1518538195                      ; 0x5a830dd3
	.long	3467537935                      ; 0xceae6e0f
	.long	472234793                       ; 0x1c25bb29
	.long	1918362523                      ; 0x7257e39b
	.long	3159176627                      ; 0xbc4d35b3
	.long	1835413488                      ; 0x6d662ff0
	.long	3525703395                      ; 0xd225f6e3
	.long	1756411033                      ; 0x68b0b499
	.long	490591069                       ; 0x1d3dd35d
	.long	2153206130                      ; 0x80575172
	.long	1054245423                      ; 0x3ed6822f
	;; [unrolled: 1-line block ×3, first 2 shown]
	.long	628617330                       ; 0x2577f072
	.long	2464143505                      ; 0x92dfd891
	.long	3547421156                      ; 0xd37159e4
	;; [unrolled: 1-line block ×12, first 2 shown]
	.long	214641634                       ; 0xccb2be2
	.long	1601114903                      ; 0x5f6f1317
	.long	3032545707                      ; 0xb4c0f9ab
	.long	5784133                         ; 0x584245
	.long	1466424840                      ; 0x5767de08
	.long	2251379876                      ; 0x863154a4
	.long	4054080092                      ; 0xf1a45a5c
	.long	2965144328                      ; 0xb0bc8308
	.long	644228426                       ; 0x2666254a
	.long	1397556958                      ; 0x534d06de
	.long	422190032                       ; 0x192a1bd0
	.long	3059134799                      ; 0xb656b14f
	.long	3779253493                      ; 0xe142d4f5
	.long	1314537880                      ; 0x4e5a4198
	.long	867798895                       ; 0x33b98f6f
	.long	3819721559                      ; 0xe3ac5357
	.long	3588436937                      ; 0xd5e333c9
	.long	670021879                       ; 0x27efb8f7
	.long	1070365654                      ; 0x3fcc7bd6
	.long	3339455790                      ; 0xc70c0d2e
	;; [unrolled: 1-line block ×11, first 2 shown]
	.long	84977051                        ; 0x510a59b
	.long	3689257381                      ; 0xdbe599a5
	.long	3289717503                      ; 0xc4151aff
	;; [unrolled: 1-line block ×4, first 2 shown]
	.long	173255911                       ; 0xa53ace7
	.long	1929987033                      ; 0x730943d9
	.long	4221790572                      ; 0xfba3696c
	;; [unrolled: 1-line block ×3, first 2 shown]
	.long	749060417                       ; 0x2ca5c141
	.long	2711561754                      ; 0xa19f261a
	.long	316719217                       ; 0x12e0c071
	.long	2359410057                      ; 0x8ca1bd89
	.long	2014271053                      ; 0x780f564d
	;; [unrolled: 1-line block ×15, first 2 shown]
	.long	797186100                       ; 0x2f841834
	.long	1299000541                      ; 0x4d6d2cdd
	.long	1870322719                      ; 0x6f7adc1f
	;; [unrolled: 1-line block ×20, first 2 shown]
	.long	686192293                       ; 0x28e676a5
	.long	1078633032                      ; 0x404aa248
	.long	3066910876                      ; 0xb6cd589c
	.long	793688350                       ; 0x2f4eb91e
	.long	3613674912                      ; 0xd7644da0
	.long	387713910                       ; 0x171c0b76
	.long	2660476731                      ; 0x9e93a73b
	.long	3032509241                      ; 0xb4c06b39
	;; [unrolled: 1-line block ×9, first 2 shown]
	.long	187577732                       ; 0xb2e3584
	.long	1568270802                      ; 0x5d79e9d2
	.long	2098502315                      ; 0x7d149aab
	;; [unrolled: 1-line block ×10, first 2 shown]
	.long	315381589                       ; 0x12cc5755
	.long	3645907425                      ; 0xd95021e1
	.long	3532420114                      ; 0xd28c7412
	.long	802256935                       ; 0x2fd17827
	.long	1270128258                      ; 0x4bb49e82
	.long	2695868207                      ; 0xa0afaf2f
	;; [unrolled: 1-line block ×4, first 2 shown]
	.long	510396943                       ; 0x1e6c0a0f
	.long	3683116722                      ; 0xdb87e6b2
	.long	3943939501                      ; 0xeb13bdad
	.long	146061942                       ; 0x8b4ba76
	.long	733291914                       ; 0x2bb5258a
	.long	1402325031                      ; 0x5395c827
	.long	672641124                       ; 0x2817b064
	.long	2817168601                      ; 0xa7ea94d9
	.long	2622398925                      ; 0x9c4ea1cd
	;; [unrolled: 1-line block ×7, first 2 shown]
	.long	234404736                       ; 0xdf8bb80
	.long	1921499010                      ; 0x7287bf82
	.long	2300706258                      ; 0x8921fdd2
	;; [unrolled: 1-line block ×3, first 2 shown]
	.long	207802178                       ; 0xc62cf42
	.long	2674605425                      ; 0x9f6b3d71
	.long	2688377241                      ; 0xa03d6199
	;; [unrolled: 1-line block ×7, first 2 shown]
	.long	228073476                       ; 0xd982004
	.long	2936443283                      ; 0xaf069193
	.long	3713102344                      ; 0xdd517208
	;; [unrolled: 1-line block ×3, first 2 shown]
	.long	209348683                       ; 0xc7a684b
	.long	3730808488                      ; 0xde5f9ea8
	.long	275442226                       ; 0x106aea32
	.long	223820143                       ; 0xd57396f
	.long	2365614109                      ; 0x8d00681d
	.long	3017206322                      ; 0xb3d6ea32
	;; [unrolled: 1-line block ×11, first 2 shown]
	.long	99552511                        ; 0x5ef0cff
	.long	1369361877                      ; 0x519ecdd5
	.long	1888041043                      ; 0x70893853
	;; [unrolled: 1-line block ×6, first 2 shown]
	.long	293292961                       ; 0x117b4ba1
	.long	1811276320                      ; 0x6bf5e220
	.long	1083136897                      ; 0x408f5b81
	;; [unrolled: 1-line block ×3, first 2 shown]
	.long	950611584                       ; 0x38a92e80
	.long	2165628367                      ; 0x8114ddcf
	.long	4140133899                      ; 0xf6c56e0b
	;; [unrolled: 1-line block ×3, first 2 shown]
	.long	990501164                       ; 0x3b09d92c
	.long	2185997143                      ; 0x824bab57
	.long	1769871204                      ; 0x697e1764
	.long	721625457                       ; 0x2b032171
	.long	567446962                       ; 0x21d28db2
	.long	1695515231                      ; 0x650f825f
	.long	1848699963                      ; 0x6e30ec3b
	;; [unrolled: 1-line block ×6, first 2 shown]
	.long	517434635                       ; 0x1ed76d0b
	.long	3827063239                      ; 0xe41c59c7
	.long	3483118065                      ; 0xcf9c29f1
	.long	760366769                       ; 0x2d5246b1
	.long	3072996795                      ; 0xb72a35bb
	.long	3548263896                      ; 0xd37e35d8
	;; [unrolled: 1-line block ×4, first 2 shown]
	.long	410255606                       ; 0x187400f6
	.long	1992500865                      ; 0x76c32681
	.long	1322267629                      ; 0x4ed033ed
	;; [unrolled: 1-line block ×5, first 2 shown]
	.long	216375429                       ; 0xce5a085
	.long	2002236178                      ; 0x7757b312
	.long	1834631738                      ; 0x6d5a423a
	;; [unrolled: 1-line block ×7, first 2 shown]
	.long	589002062                       ; 0x231b754e
	.long	137665950                       ; 0x8349d9e
	.long	3933018338                      ; 0xea6d18e2
	.long	1519132173                      ; 0x5a8c1e0d
	;; [unrolled: 1-line block ×5, first 2 shown]
	.long	855336825                       ; 0x32fb6779
	.long	1882502420                      ; 0x7034b514
	.long	1081015168                      ; 0x406efb80
	;; [unrolled: 1-line block ×5, first 2 shown]
	.long	99374978                        ; 0x5ec5782
	.long	733926790                       ; 0x2bbed586
	.long	3520260556                      ; 0xd1d2e9cc
	.long	3643143173                      ; 0xd925f405
	.long	927318029                       ; 0x3745c00d
	.long	398003191                       ; 0x17b90bf7
	.long	3472026294                      ; 0xcef2eab6
	.long	3518018860                      ; 0xd1b0b52c
	;; [unrolled: 1-line block ×9, first 2 shown]
	.long	740308004                       ; 0x2c203424
	.long	1988900647                      ; 0x768c3727
	.long	2936479173                      ; 0xaf071dc5
	;; [unrolled: 1-line block ×6, first 2 shown]
	.long	214260739                       ; 0xcc55c03
	.long	3493892012                      ; 0xd0408fac
	.long	2358001919                      ; 0x8c8c40ff
	;; [unrolled: 1-line block ×3, first 2 shown]
	.long	952871363                       ; 0x38cba9c3
	.long	1216985499                      ; 0x4889b99b
	.long	2706067772                      ; 0xa14b513c
	;; [unrolled: 1-line block ×6, first 2 shown]
	.long	311831945                       ; 0x12962d89
	.long	3409272605                      ; 0xcb355f1d
	.long	4266242510                      ; 0xfe49b1ce
	.long	3590716427                      ; 0xd605fc0b
	.long	537257045                       ; 0x2005e455
	.long	3153762469                      ; 0xbbfa98a5
	.long	1620749663                      ; 0x609aad5f
	;; [unrolled: 1-line block ×5, first 2 shown]
	.long	783551642                       ; 0x2eb40c9a
	.long	1305153827                      ; 0x4dcb1123
	.long	2026979662                      ; 0x78d1414e
	;; [unrolled: 1-line block ×6, first 2 shown]
	.long	440623817                       ; 0x1a4362c9
	.long	204979344                       ; 0xc37bc90
	.long	1674764841                      ; 0x63d2e229
	.long	633231391                       ; 0x25be581f
	.long	4180702701                      ; 0xf93075ed
	.long	1953210184                      ; 0x746b9f48
	;; [unrolled: 1-line block ×6, first 2 shown]
	.long	678445398                       ; 0x28704156
	.long	1502035091                      ; 0x59873c93
	.long	302442688                       ; 0x1206e8c0
	.long	493504779                       ; 0x1d6a490b
	.long	2321459487                      ; 0x8a5ea91f
	.long	1141171231                      ; 0x4404e41f
	;; [unrolled: 1-line block ×3, first 2 shown]
	.long	672678623                       ; 0x281842df
	.long	4046722895                      ; 0xf134174f
	.long	65675127                        ; 0x3ea1f77
	.long	2936731189                      ; 0xaf0af635
	.long	441159654                       ; 0x1a4b8fe6
	.long	832039862                       ; 0x3197ebb6
	.long	2252252769                      ; 0x863ea661
	.long	3090962795                      ; 0xb83c596b
	;; [unrolled: 1-line block ×3, first 2 shown]
	.long	645344032                       ; 0x26772b20
	.long	2921087914                      ; 0xae1c43aa
	.long	2264738834                      ; 0x86fd2c12
	;; [unrolled: 1-line block ×3, first 2 shown]
	.long	778789539                       ; 0x2e6b62a3
	.long	737962654                       ; 0x2bfc6a9e
	.long	2859693559                      ; 0xaa7375f7
	.long	2784310535                      ; 0xa5f53507
	.long	493247978                       ; 0x1d665dea
	.long	185832691                       ; 0xb1394f3
	.long	3321631011                      ; 0xc5fc1123
	.long	641506549                       ; 0x263c9cf5
	.long	2652806878                      ; 0x9e1e9ede
	;; [unrolled: 2-line block ×4, first 2 shown]
	.long	1985586093                      ; 0x7659a3ad
	.long	2005504076                      ; 0x7789904c
	;; [unrolled: 1-line block ×3, first 2 shown]
	.long	127488455                       ; 0x79951c7
	.long	2254755902                      ; 0x8664d83e
	.long	3789154730                      ; 0xe1d9e9aa
	;; [unrolled: 1-line block ×3, first 2 shown]
	.long	99552511                        ; 0x5ef0cff
	.long	2160330513                      ; 0x80c40711
	.long	1888041043                      ; 0x70893853
	;; [unrolled: 1-line block ×6, first 2 shown]
	.long	293292961                       ; 0x117b4ba1
	.long	1811276320                      ; 0x6bf5e220
	.long	1083136897                      ; 0x408f5b81
	;; [unrolled: 1-line block ×3, first 2 shown]
	.long	116883339                       ; 0x6f77f8b
	.long	2165628367                      ; 0x8114ddcf
	.long	4140133899                      ; 0xf6c56e0b
	;; [unrolled: 1-line block ×3, first 2 shown]
	.long	990501164                       ; 0x3b09d92c
	.long	4099344218                      ; 0xf457075a
	.long	1769871204                      ; 0x697e1764
	.long	721625457                       ; 0x2b032171
	.long	567446962                       ; 0x21d28db2
	.long	1695515231                      ; 0x650f825f
	.long	1218419978                      ; 0x489f9d0a
	;; [unrolled: 1-line block ×6, first 2 shown]
	.long	237254804                       ; 0xe243894
	.long	3827063239                      ; 0xe41c59c7
	.long	3483118065                      ; 0xcf9c29f1
	.long	760366769                       ; 0x2d5246b1
	.long	3072996795                      ; 0xb72a35bb
	.long	1020639813                      ; 0x3cd5ba45
	;; [unrolled: 1-line block ×4, first 2 shown]
	.long	410255606                       ; 0x187400f6
	.long	1992500865                      ; 0x76c32681
	.long	1887858126                      ; 0x70866dce
	;; [unrolled: 1-line block ×5, first 2 shown]
	.long	216375429                       ; 0xce5a085
	.long	2096265248                      ; 0x7cf27820
	.long	1834631738                      ; 0x6d5a423a
	;; [unrolled: 1-line block ×7, first 2 shown]
	.long	589002062                       ; 0x231b754e
	.long	137665950                       ; 0x8349d9e
	.long	3933018338                      ; 0xea6d18e2
	.long	3823062902                      ; 0xe3df4f76
	;; [unrolled: 1-line block ×5, first 2 shown]
	.long	855336825                       ; 0x32fb6779
	.long	3240858503                      ; 0xc12b9387
	.long	1081015168                      ; 0x406efb80
	;; [unrolled: 1-line block ×6, first 2 shown]
	.long	733926790                       ; 0x2bbed586
	.long	3520260556                      ; 0xd1d2e9cc
	.long	3643143173                      ; 0xd925f405
	.long	927318029                       ; 0x3745c00d
	.long	2130442867                      ; 0x7efbfa73
	.long	3472026294                      ; 0xcef2eab6
	;; [unrolled: 1-line block ×5, first 2 shown]
	.long	253769320                       ; 0xf203668
	.long	1294634949                      ; 0x4d2a8fc5
	.long	3977318486                      ; 0xed111056
	;; [unrolled: 1-line block ×9, first 2 shown]
	.long	477065277                       ; 0x1c6f703d
	.long	3746094733                      ; 0xdf48de8d
	.long	214260739                       ; 0xcc55c03
	.long	3493892012                      ; 0xd0408fac
	.long	2358001919                      ; 0x8c8c40ff
	.long	52055911                        ; 0x31a4f67
	.long	952871363                       ; 0x38cba9c3
	.long	1216985499                      ; 0x4889b99b
	.long	2706067772                      ; 0xa14b513c
	;; [unrolled: 1-line block ×6, first 2 shown]
	.long	311831945                       ; 0x12962d89
	.long	3409272605                      ; 0xcb355f1d
	.long	2066128794                      ; 0x7b269f9a
	;; [unrolled: 1-line block ×3, first 2 shown]
	.long	537257045                       ; 0x2005e455
	.long	3153762469                      ; 0xbbfa98a5
	.long	1620749663                      ; 0x609aad5f
	;; [unrolled: 1-line block ×5, first 2 shown]
	.long	783551642                       ; 0x2eb40c9a
	.long	1305153827                      ; 0x4dcb1123
	.long	3937339872                      ; 0xeaaf09e0
	;; [unrolled: 1-line block ×7, first 2 shown]
	.long	204979344                       ; 0xc37bc90
	.long	1674764841                      ; 0x63d2e229
	.long	633231391                       ; 0x25be581f
	.long	4180702701                      ; 0xf93075ed
	.long	2649553051                      ; 0x9decf89b
	;; [unrolled: 1-line block ×8, first 2 shown]
	.long	302442688                       ; 0x1206e8c0
	.long	493504779                       ; 0x1d6a490b
	.long	2321459487                      ; 0x8a5ea91f
	.long	1795212504                      ; 0x6b00c4d8
	;; [unrolled: 1-line block ×3, first 2 shown]
	.long	672678623                       ; 0x281842df
	.long	4046722895                      ; 0xf134174f
	.long	65675127                        ; 0x3ea1f77
	.long	2810951967                      ; 0xa78bb91f
	.long	441159654                       ; 0x1a4b8fe6
	.long	832039862                       ; 0x3197ebb6
	.long	2252252769                      ; 0x863ea661
	.long	3090962795                      ; 0xb83c596b
	.long	3317253399                      ; 0xc5b94517
	.long	645344032                       ; 0x26772b20
	.long	2921087914                      ; 0xae1c43aa
	.long	2264738834                      ; 0x86fd2c12
	;; [unrolled: 1-line block ×4, first 2 shown]
	.long	737962654                       ; 0x2bfc6a9e
	.long	2859693559                      ; 0xaa7375f7
	.long	2784310535                      ; 0xa5f53507
	.long	493247978                       ; 0x1d665dea
	.long	555655767                       ; 0x211ea257
	.long	3321631011                      ; 0xc5fc1123
	.long	641506549                       ; 0x263c9cf5
	.long	2652806878                      ; 0x9e1e9ede
	;; [unrolled: 2-line block ×4, first 2 shown]
	.long	1985586093                      ; 0x7659a3ad
	.long	2005504076                      ; 0x7789904c
	.long	2274320195                      ; 0x878f5f43
	.long	127488455                       ; 0x79951c7
	.long	2254755902                      ; 0x8664d83e
	.long	3789154730                      ; 0xe1d9e9aa
	;; [unrolled: 1-line block ×10, first 2 shown]
	.long	293292961                       ; 0x117b4ba1
	.long	1811276320                      ; 0x6bf5e220
	.long	1083136897                      ; 0x408f5b81
	.long	825098089                       ; 0x312dff69
	.long	116883339                       ; 0x6f77f8b
	.long	2165628367                      ; 0x8114ddcf
	.long	4140133899                      ; 0xf6c56e0b
	;; [unrolled: 1-line block ×6, first 2 shown]
	.long	721625457                       ; 0x2b032171
	.long	567446962                       ; 0x21d28db2
	.long	3598160577                      ; 0xd67792c1
	.long	1218419978                      ; 0x489f9d0a
	;; [unrolled: 1-line block ×5, first 2 shown]
	.long	923374392                       ; 0x37099338
	.long	237254804                       ; 0xe243894
	.long	3827063239                      ; 0xe41c59c7
	.long	3483118065                      ; 0xcf9c29f1
	.long	760366769                       ; 0x2d5246b1
	.long	2263405553                      ; 0x86e8d3f1
	.long	1020639813                      ; 0x3cd5ba45
	;; [unrolled: 1-line block ×4, first 2 shown]
	.long	410255606                       ; 0x187400f6
	.long	3382265961                      ; 0xc9994869
	.long	1887858126                      ; 0x70866dce
	;; [unrolled: 1-line block ×10, first 2 shown]
	.long	711626863                       ; 0x2a6a906f
	.long	3267338158                      ; 0xc2bf9fae
	.long	4095227658                      ; 0xf418370a
	.long	589002062                       ; 0x231b754e
	.long	137665950                       ; 0x8349d9e
	.long	1190761134                      ; 0x46f992ae
	.long	3823062902                      ; 0xe3df4f76
	;; [unrolled: 1-line block ×10, first 2 shown]
	.long	589447946                       ; 0x2322430a
	.long	4034899335                      ; 0xf07fad87
	.long	733926790                       ; 0x2bbed586
	.long	3520260556                      ; 0xd1d2e9cc
	.long	3643143173                      ; 0xd925f405
	;; [unrolled: 1-line block ×8, first 2 shown]
	.long	253769320                       ; 0xf203668
	.long	1294634949                      ; 0x4d2a8fc5
	.long	3977318486                      ; 0xed111056
	;; [unrolled: 1-line block ×3, first 2 shown]
	.long	702365700                       ; 0x29dd4004
	.long	3100107703                      ; 0xb8c7e3b7
	.long	1988900647                      ; 0x768c3727
	;; [unrolled: 1-line block ×4, first 2 shown]
	.long	969926974                       ; 0x39cfe93e
	.long	477065277                       ; 0x1c6f703d
	.long	3746094733                      ; 0xdf48de8d
	.long	214260739                       ; 0xcc55c03
	.long	3493892012                      ; 0xd0408fac
	.long	2890740482                      ; 0xac4d3302
	.long	52055911                        ; 0x31a4f67
	.long	952871363                       ; 0x38cba9c3
	.long	1216985499                      ; 0x4889b99b
	.long	2706067772                      ; 0xa14b513c
	;; [unrolled: 1-line block ×6, first 2 shown]
	.long	311831945                       ; 0x12962d89
	.long	701108525                       ; 0x29ca112d
	.long	2066128794                      ; 0x7b269f9a
	.long	3590716427                      ; 0xd605fc0b
	.long	537257045                       ; 0x2005e455
	.long	3153762469                      ; 0xbbfa98a5
	.long	2900214585                      ; 0xacddc339
	;; [unrolled: 1-line block ×5, first 2 shown]
	.long	783551642                       ; 0x2eb40c9a
	.long	3143067452                      ; 0xbb57673c
	.long	3937339872                      ; 0xeaaf09e0
	;; [unrolled: 1-line block ×7, first 2 shown]
	.long	204979344                       ; 0xc37bc90
	.long	1674764841                      ; 0x63d2e229
	.long	633231391                       ; 0x25be581f
	.long	689425572                       ; 0x2917cca4
	.long	2649553051                      ; 0x9decf89b
	.long	2534954734                      ; 0x971856ee
	;; [unrolled: 1-line block ×4, first 2 shown]
	.long	865432399                       ; 0x3395734f
	.long	3777379050                      ; 0xe1263aea
	.long	1502035091                      ; 0x59873c93
	.long	302442688                       ; 0x1206e8c0
	.long	493504779                       ; 0x1d6a490b
	.long	1282312650                      ; 0x4c6e89ca
	.long	1795212504                      ; 0x6b00c4d8
	;; [unrolled: 1-line block ×3, first 2 shown]
	.long	672678623                       ; 0x281842df
	.long	4046722895                      ; 0xf134174f
	.long	976003271                       ; 0x3a2ca0c7
	.long	2810951967                      ; 0xa78bb91f
	.long	441159654                       ; 0x1a4b8fe6
	.long	832039862                       ; 0x3197ebb6
	.long	2252252769                      ; 0x863ea661
	.long	726554843                       ; 0x2b4e58db
	.long	3317253399                      ; 0xc5b94517
	;; [unrolled: 2-line block ×3, first 2 shown]
	.long	2264738834                      ; 0x86fd2c12
	.long	1325395107                      ; 0x4effeca3
	;; [unrolled: 1-line block ×3, first 2 shown]
	.long	737962654                       ; 0x2bfc6a9e
	.long	2859693559                      ; 0xaa7375f7
	.long	2784310535                      ; 0xa5f53507
	;; [unrolled: 1-line block ×3, first 2 shown]
	.long	555655767                       ; 0x211ea257
	.long	3321631011                      ; 0xc5fc1123
	.long	641506549                       ; 0x263c9cf5
	.long	2652806878                      ; 0x9e1e9ede
	.long	3848380198                      ; 0xe5619f26
	;; [unrolled: 1-line block ×3, first 2 shown]
	.long	984807024                       ; 0x3ab2f670
	.long	1545504510                      ; 0x5c1e86fe
	.long	1985586093                      ; 0x7659a3ad
	;; [unrolled: 1-line block ×4, first 2 shown]
	.long	127488455                       ; 0x79951c7
	.long	2254755902                      ; 0x8664d83e
	.long	3789154730                      ; 0xe1d9e9aa
	;; [unrolled: 1-line block ×10, first 2 shown]
	.long	293292961                       ; 0x117b4ba1
	.long	1811276320                      ; 0x6bf5e220
	.long	3280464626                      ; 0xc387eaf2
	.long	825098089                       ; 0x312dff69
	.long	116883339                       ; 0x6f77f8b
	.long	2165628367                      ; 0x8114ddcf
	.long	4140133899                      ; 0xf6c56e0b
	;; [unrolled: 1-line block ×6, first 2 shown]
	.long	721625457                       ; 0x2b032171
	.long	1514083147                      ; 0x5a3f134b
	.long	3598160577                      ; 0xd67792c1
	;; [unrolled: 1-line block ×5, first 2 shown]
	.long	200993429                       ; 0xbfaea95
	.long	923374392                       ; 0x37099338
	;; [unrolled: 1-line block ×3, first 2 shown]
	.long	3827063239                      ; 0xe41c59c7
	.long	3483118065                      ; 0xcf9c29f1
	.long	677187089                       ; 0x285d0e11
	.long	2263405553                      ; 0x86e8d3f1
	.long	1020639813                      ; 0x3cd5ba45
	;; [unrolled: 1-line block ×15, first 2 shown]
	.long	711626863                       ; 0x2a6a906f
	.long	3267338158                      ; 0xc2bf9fae
	.long	4095227658                      ; 0xf418370a
	.long	589002062                       ; 0x231b754e
	.long	3125839176                      ; 0xba508548
	.long	1190761134                      ; 0x46f992ae
	;; [unrolled: 1-line block ×10, first 2 shown]
	.long	258762412                       ; 0xf6c66ac
	.long	589447946                       ; 0x2322430a
	.long	4034899335                      ; 0xf07fad87
	.long	733926790                       ; 0x2bbed586
	.long	3520260556                      ; 0xd1d2e9cc
	.long	4290301810                      ; 0xffb8cf72
	;; [unrolled: 1-line block ×8, first 2 shown]
	.long	253769320                       ; 0xf203668
	.long	1294634949                      ; 0x4d2a8fc5
	.long	3977318486                      ; 0xed111056
	;; [unrolled: 1-line block ×3, first 2 shown]
	.long	702365700                       ; 0x29dd4004
	.long	3100107703                      ; 0xb8c7e3b7
	.long	1988900647                      ; 0x768c3727
	;; [unrolled: 1-line block ×4, first 2 shown]
	.long	969926974                       ; 0x39cfe93e
	.long	477065277                       ; 0x1c6f703d
	.long	3746094733                      ; 0xdf48de8d
	.long	214260739                       ; 0xcc55c03
	.long	3868449115                      ; 0xe693d95b
	.long	2890740482                      ; 0xac4d3302
	.long	52055911                        ; 0x31a4f67
	.long	952871363                       ; 0x38cba9c3
	.long	1216985499                      ; 0x4889b99b
	.long	2857823043                      ; 0xaa56eb43
	;; [unrolled: 1-line block ×7, first 2 shown]
	.long	701108525                       ; 0x29ca112d
	.long	2066128794                      ; 0x7b269f9a
	.long	3590716427                      ; 0xd605fc0b
	.long	537257045                       ; 0x2005e455
	.long	1202524172                      ; 0x47ad100c
	.long	2900214585                      ; 0xacddc339
	;; [unrolled: 1-line block ×13, first 2 shown]
	.long	204979344                       ; 0xc37bc90
	.long	1674764841                      ; 0x63d2e229
	.long	2684386058                      ; 0xa0007b0a
	.long	689425572                       ; 0x2917cca4
	.long	2649553051                      ; 0x9decf89b
	.long	2534954734                      ; 0x971856ee
	;; [unrolled: 1-line block ×4, first 2 shown]
	.long	865432399                       ; 0x3395734f
	.long	3777379050                      ; 0xe1263aea
	.long	1502035091                      ; 0x59873c93
	.long	302442688                       ; 0x1206e8c0
	.long	970989610                       ; 0x39e0202a
	.long	1282312650                      ; 0x4c6e89ca
	.long	1795212504                      ; 0x6b00c4d8
	;; [unrolled: 1-line block ×3, first 2 shown]
	.long	672678623                       ; 0x281842df
	.long	3080995547                      ; 0xb7a442db
	.long	976003271                       ; 0x3a2ca0c7
	.long	2810951967                      ; 0xa78bb91f
	.long	441159654                       ; 0x1a4b8fe6
	.long	832039862                       ; 0x3197ebb6
	.long	2670291295                      ; 0x9f29695f
	.long	726554843                       ; 0x2b4e58db
	.long	3317253399                      ; 0xc5b94517
	;; [unrolled: 2-line block ×3, first 2 shown]
	.long	3039207936                      ; 0xb526a200
	.long	1325395107                      ; 0x4effeca3
	;; [unrolled: 1-line block ×3, first 2 shown]
	.long	737962654                       ; 0x2bfc6a9e
	.long	2859693559                      ; 0xaa7375f7
	.long	2452474228                      ; 0x922dc974
	;; [unrolled: 1-line block ×3, first 2 shown]
	.long	555655767                       ; 0x211ea257
	.long	3321631011                      ; 0xc5fc1123
	.long	641506549                       ; 0x263c9cf5
	.long	712394572                       ; 0x2a76474c
	;; [unrolled: 1-line block ×3, first 2 shown]
	.long	3691485988                      ; 0xdc079b24
	.long	77755644                        ; 0x4a274fc
	.long	3585967569                      ; 0xd5bd85d1
	.long	1546642657                      ; 0x5c2fe4e1
	;; [unrolled: 1-line block ×12, first 2 shown]
	.long	72781059                        ; 0x4568d03
	.long	1412697099                      ; 0x54340c0b
	.long	3828782214                      ; 0xe4369486
	;; [unrolled: 1-line block ×11, first 2 shown]
	.long	901649504                       ; 0x35be1460
	.long	4107276625                      ; 0xf4d01151
	.long	1613775409                      ; 0x60304231
	.long	741888560                       ; 0x2c385230
	.long	332459303                       ; 0x13d0ed27
	;; [unrolled: 1-line block ×3, first 2 shown]
	.long	3249391248                      ; 0xc1adc690
	.long	3550484151                      ; 0xd3a016b7
	;; [unrolled: 1-line block ×3, first 2 shown]
	.long	233288631                       ; 0xde7b3b7
	.long	2496730550                      ; 0x94d115b6
	.long	3221264250                      ; 0xc000977a
	;; [unrolled: 1-line block ×9, first 2 shown]
	.long	18180577                        ; 0x11569e1
	.long	2819625557                      ; 0xa8101255
	.long	1978393449                      ; 0x75ebe369
	.long	372704074                       ; 0x1637034a
	.long	3919523286                      ; 0xe99f2dd6
	.long	1777756963                      ; 0x69f66b23
	.long	188652529                       ; 0xb3e9bf1
	.long	411213996                       ; 0x1882a0ac
	.long	62282979                        ; 0x3b65ce3
	.long	3775037518                      ; 0xe102804e
	.long	2534579861                      ; 0x97129e95
	;; [unrolled: 1-line block ×6, first 2 shown]
	.long	362579125                       ; 0x159c84b5
	.long	1232030882                      ; 0x496f4ca2
	.long	575379775                       ; 0x224b993f
	.long	1019196436                      ; 0x3cbfb414
	.long	1914161190                      ; 0x7217c826
	;; [unrolled: 1-line block ×5, first 2 shown]
	.long	138396720                       ; 0x83fc430
	.long	1299868479                      ; 0x4d7a6b3f
	.long	507152626                       ; 0x1e3a88f2
	.long	2129033575                      ; 0x7ee67967
	.long	3801624222                      ; 0xe2982e9e
	.long	623352301                       ; 0x252799ed
	.long	1551535796                      ; 0x5c7a8eb4
	.long	3848329776                      ; 0xe560da30
	;; [unrolled: 1-line block ×9, first 2 shown]
	.long	1970542                         ; 0x1e116e
	.long	1320230637                      ; 0x4eb11eed
	.long	2583706801                      ; 0x9a003cb1
	;; [unrolled: 1-line block ×10, first 2 shown]
	.long	130350645                       ; 0x7c4fe35
	.long	956540733                       ; 0x3903a73d
	;; [unrolled: 1-line block ×3, first 2 shown]
	.long	2266749094                      ; 0x871bd8a6
	.long	2220603773                      ; 0x845bb97d
	.long	2556170531                      ; 0x985c1123
	.long	263980324                       ; 0xfbc0524
	.long	802194348                       ; 0x2fd083ac
	.long	697108594                       ; 0x298d0872
	.long	3634984969                      ; 0xd8a97809
	.long	4251738712                      ; 0xfd6c6258
	;; [unrolled: 1-line block ×7, first 2 shown]
	.long	990686800                       ; 0x3b0cae50
	.long	2391278490                      ; 0x8e88039a
	.long	2233755358                      ; 0x852466de
	;; [unrolled: 1-line block ×4, first 2 shown]
	.long	340925249                       ; 0x14521b41
	.long	2442887806                      ; 0x919b827e
	.long	3503407512                      ; 0xd0d1c198
	;; [unrolled: 1-line block ×10, first 2 shown]
	.long	641384071                       ; 0x263abe87
	.long	2437977832                      ; 0x915096e8
	.long	1689385197                      ; 0x64b1f8ed
	;; [unrolled: 1-line block ×3, first 2 shown]
	.long	861337916                       ; 0x3356f93c
	.long	3532905860                      ; 0xd293dd84
	.long	3735971843                      ; 0xdeae6803
	;; [unrolled: 1-line block ×9, first 2 shown]
	.long	29821726                        ; 0x1c70b1e
	.long	2790044161                      ; 0xa64cb201
	.long	3154591207                      ; 0xbc073de7
	;; [unrolled: 1-line block ×5, first 2 shown]
	.long	544374401                       ; 0x20727e81
	.long	101012897                       ; 0x60555a1
	.long	4214903025                      ; 0xfb3a50f1
	.long	1310520049                      ; 0x4e1cf2f1
	.long	14884434                        ; 0xe31e52
	.long	1438288148                      ; 0x55ba8914
	.long	2118574986                      ; 0x7e46e38a
	;; [unrolled: 1-line block ×3, first 2 shown]
	.long	512167778                       ; 0x1e870f62
	.long	4186534704                      ; 0xf9897330
	.long	3633828199                      ; 0xd897d167
	.long	493600836                       ; 0x1d6bc044
	.long	2932801042                      ; 0xaecefe12
	.long	4101748508                      ; 0xf47bb71c
	;; [unrolled: 1-line block ×11, first 2 shown]
	.long	589138388                       ; 0x231d89d4
	.long	3960459504                      ; 0xec0fd0f0
	.long	450669757                       ; 0x1adcacbd
	.long	3773736740                      ; 0xe0eea724
	.long	2107201112                      ; 0x7d995658
	;; [unrolled: 1-line block ×5, first 2 shown]
	.long	968349971                       ; 0x39b7d913
	.long	1891706458                      ; 0x70c1265a
	.long	2333451375                      ; 0x8b15a46f
	;; [unrolled: 1-line block ×6, first 2 shown]
	.long	105573058                       ; 0x64aeac2
	.long	2075999861                      ; 0x7bbd3e75
	.long	1053920954                      ; 0x3ed18eba
	;; [unrolled: 1-line block ×7, first 2 shown]
	.long	534937136                       ; 0x1fe27e30
	.long	3492326400                      ; 0xd028ac00
	.long	2406499346                      ; 0x8f704412
	.long	617315838                       ; 0x24cb7dfe
	.long	1384748442                      ; 0x5289959a
	.long	519804615                       ; 0x1efb96c7
	.long	524657043                       ; 0x1f45a193
	;; [unrolled: 1-line block ×5, first 2 shown]
	.long	2428809631                      ; 0x90c4b19f
	.long	3401589884                      ; 0xcac0247c
	;; [unrolled: 1-line block ×9, first 2 shown]
	.long	613070434                       ; 0x248ab662
	.long	1599903665                      ; 0x5f5c97b1
	.long	3476967713                      ; 0xcf3e5121
	;; [unrolled: 1-line block ×3, first 2 shown]
	.long	207879231                       ; 0xc63fc3f
	.long	1256308247                      ; 0x4ae1be17
	.long	2538975486                      ; 0x9755b0fe
	;; [unrolled: 1-line block ×4, first 2 shown]
	.long	915640692                       ; 0x36939174
	.long	1633749116                      ; 0x6161087c
	.long	1294669585                      ; 0x4d2b1711
	.long	3257901643                      ; 0xc22fa24b
	.long	3193347552                      ; 0xbe569de0
	.long	3369630539                      ; 0xc8d87b4b
	.long	285165240                       ; 0x10ff46b8
	.long	2337727802                      ; 0x8b56e53a
	.long	1854640523                      ; 0x6e8b918b
	;; [unrolled: 1-line block ×4, first 2 shown]
	.long	889104297                       ; 0x34fea7a9
	.long	3084078942                      ; 0xb7d34f5e
	.long	3485609519                      ; 0xcfc22e2f
	;; [unrolled: 1-line block ×6, first 2 shown]
	.long	775170461                       ; 0x2e34299d
	.long	551343738                       ; 0x20dcd67a
	;; [unrolled: 1-line block ×3, first 2 shown]
	.long	1678786363                      ; 0x64103f3b
	.long	123960948                       ; 0x7637e74
	.long	2721608023                      ; 0xa2387157
	.long	3463122611                      ; 0xce6b0eb3
	;; [unrolled: 1-line block ×5, first 2 shown]
	.long	665433501                       ; 0x27a9b59d
	.long	1784274031                      ; 0x6a59dc6f
	.long	3436850186                      ; 0xccda2c0a
	;; [unrolled: 1-line block ×3, first 2 shown]
	.long	383031580                       ; 0x16d4991c
	.long	2146948399                      ; 0x7ff7d52f
	.long	3137780800                      ; 0xbb06bc40
	.long	410458873                       ; 0x18771af9
	.long	381977170                       ; 0x16c48252
	.long	4264728702                      ; 0xfe32987e
	.long	1515223147                      ; 0x5a50786b
	;; [unrolled: 1-line block ×3, first 2 shown]
	.long	139804933                       ; 0x8554105
	.long	438534588                       ; 0x1a2381bc
	;; [unrolled: 1-line block ×3, first 2 shown]
	.long	1536972976                      ; 0x5b9c58b0
	.long	184570377                       ; 0xb005209
	.long	681864510                       ; 0x28a46d3e
	;; [unrolled: 1-line block ×3, first 2 shown]
	.long	2515362910                      ; 0x95ed645e
	.long	917461167                       ; 0x36af58af
	.long	2538721219                      ; 0x9751cfc3
	.long	4268394152                      ; 0xfe6a86a8
	.long	680292330                       ; 0x288c6fea
	.long	3420438710                      ; 0xcbdfc0b6
	.long	3784725677                      ; 0xe19654ad
	;; [unrolled: 1-line block ×8, first 2 shown]
	.long	970129219                       ; 0x39d2ff43
	.long	2492785859                      ; 0x9494e4c3
	.long	3611863290                      ; 0xd748a8fa
	;; [unrolled: 1-line block ×7, first 2 shown]
	.long	14901408                        ; 0xe360a0
	.long	1890180396                      ; 0x70a9dd2c
	.long	1306701779                      ; 0x4de2afd3
	;; [unrolled: 1-line block ×3, first 2 shown]
	.long	637842485                       ; 0x2604b435
	.long	2830070006                      ; 0xa8af70f6
	.long	3867491336                      ; 0xe6853c08
	;; [unrolled: 1-line block ×4, first 2 shown]
	.long	479188700                       ; 0x1c8fd6dc
	.long	806498245                       ; 0x30122fc5
	.long	3905876458                      ; 0xe8cef1ea
	.long	3499065005                      ; 0xd08f7ead
	.long	3168076042                      ; 0xbcd5010a
	.long	769094339                       ; 0x2dd772c3
	.long	3769363696                      ; 0xe0abecf0
	.long	1241457026                      ; 0x49ff2182
	.long	1073618847                      ; 0x3ffe1f9f
	;; [unrolled: 4-line block ×4, first 2 shown]
	.long	3229420672                      ; 0xc07d0c80
	.long	336348290                       ; 0x140c4482
	.long	3768781638                      ; 0xe0a30b46
	.long	2593952436                      ; 0x9a9c92b4
	.long	849969290                       ; 0x32a9808a
	.long	2932801042                      ; 0xaecefe12
	.long	4101748508                      ; 0xf47bb71c
	;; [unrolled: 1-line block ×11, first 2 shown]
	.long	589138388                       ; 0x231d89d4
	.long	3960459504                      ; 0xec0fd0f0
	.long	450669757                       ; 0x1adcacbd
	.long	4253882965                      ; 0xfd8d1a55
	.long	2107201112                      ; 0x7d995658
	.long	1437834675                      ; 0x55b39db3
	.long	3618095315                      ; 0xd7a7c0d3
	.long	3662453347                      ; 0xda4c9a63
	.long	3625360228                      ; 0xd8169b64
	.long	1891706458                      ; 0x70c1265a
	.long	2333451375                      ; 0x8b15a46f
	.long	4242907074                      ; 0xfce59fc2
	.long	3265111057                      ; 0xc29da411
	.long	3638586625                      ; 0xd8e06d01
	.long	4137035018                      ; 0xf696250a
	.long	105573058                       ; 0x64aeac2
	.long	2075999861                      ; 0x7bbd3e75
	.long	1053920954                      ; 0x3ed18eba
	;; [unrolled: 1-line block ×7, first 2 shown]
	.long	701652515                       ; 0x29d25e23
	.long	3492326400                      ; 0xd028ac00
	.long	2406499346                      ; 0x8f704412
	.long	617315838                       ; 0x24cb7dfe
	.long	1384748442                      ; 0x5289959a
	.long	1142040801                      ; 0x441228e1
	.long	524657043                       ; 0x1f45a193
	.long	832148261                       ; 0x31999325
	;; [unrolled: 1-line block ×5, first 2 shown]
	.long	3401589884                      ; 0xcac0247c
	.long	2588359262                      ; 0x9a473a5e
	;; [unrolled: 1-line block ×4, first 2 shown]
	.long	337891051                       ; 0x1423ceeb
	.long	2570694144                      ; 0x9939ae00
	.long	2876613091                      ; 0xab75a1e3
	;; [unrolled: 1-line block ×3, first 2 shown]
	.long	613070434                       ; 0x248ab662
	.long	659063916                       ; 0x2748846c
	.long	3476967713                      ; 0xcf3e5121
	.long	1729385632                      ; 0x671454a0
	.long	207879231                       ; 0xc63fc3f
	.long	1256308247                      ; 0x4ae1be17
	.long	311608860                       ; 0x1292c61c
	.long	2550001448                      ; 0x97fdef28
	.long	1820975095                      ; 0x6c89dff7
	.long	915640692                       ; 0x36939174
	.long	1633749116                      ; 0x6161087c
	.long	1772334285                      ; 0x69a3accd
	;; [unrolled: 1-line block ×5, first 2 shown]
	.long	285165240                       ; 0x10ff46b8
	.long	2627441892                      ; 0x9c9b94e4
	.long	1854640523                      ; 0x6e8b918b
	;; [unrolled: 1-line block ×4, first 2 shown]
	.long	889104297                       ; 0x34fea7a9
	.long	2289660031                      ; 0x8879707f
	.long	3485609519                      ; 0xcfc22e2f
	;; [unrolled: 1-line block ×6, first 2 shown]
	.long	775170461                       ; 0x2e34299d
	.long	551343738                       ; 0x20dcd67a
	;; [unrolled: 1-line block ×3, first 2 shown]
	.long	1678786363                      ; 0x64103f3b
	.long	3109616684                      ; 0xb958fc2c
	;; [unrolled: 1-line block ×7, first 2 shown]
	.long	665433501                       ; 0x27a9b59d
	.long	1784274031                      ; 0x6a59dc6f
	.long	3436850186                      ; 0xccda2c0a
	;; [unrolled: 1-line block ×6, first 2 shown]
	.long	410458873                       ; 0x18771af9
	.long	381977170                       ; 0x16c48252
	.long	1669455215                      ; 0x6381dd6f
	.long	1515223147                      ; 0x5a50786b
	;; [unrolled: 1-line block ×3, first 2 shown]
	.long	139804933                       ; 0x8554105
	.long	438534588                       ; 0x1a2381bc
	.long	1738237971                      ; 0x679b6813
	.long	1536972976                      ; 0x5b9c58b0
	.long	184570377                       ; 0xb005209
	.long	681864510                       ; 0x28a46d3e
	;; [unrolled: 1-line block ×5, first 2 shown]
	.long	2538721219                      ; 0x9751cfc3
	.long	4268394152                      ; 0xfe6a86a8
	.long	680292330                       ; 0x288c6fea
	.long	1993152157                      ; 0x76cd169d
	.long	3784725677                      ; 0xe19654ad
	;; [unrolled: 1-line block ×8, first 2 shown]
	.long	970129219                       ; 0x39d2ff43
	.long	2492785859                      ; 0x9494e4c3
	.long	1869391890                      ; 0x6f6ca812
	;; [unrolled: 1-line block ×7, first 2 shown]
	.long	14901408                        ; 0xe360a0
	.long	1890180396                      ; 0x70a9dd2c
	.long	1306701779                      ; 0x4de2afd3
	;; [unrolled: 1-line block ×3, first 2 shown]
	.long	174545194                       ; 0xa67592a
	.long	2830070006                      ; 0xa8af70f6
	.long	3867491336                      ; 0xe6853c08
	;; [unrolled: 1-line block ×5, first 2 shown]
	.long	806498245                       ; 0x30122fc5
	.long	3905876458                      ; 0xe8cef1ea
	.long	3499065005                      ; 0xd08f7ead
	.long	3168076042                      ; 0xbcd5010a
	.long	538076966                       ; 0x20126726
	.long	3769363696                      ; 0xe0abecf0
	.long	1241457026                      ; 0x49ff2182
	.long	1073618847                      ; 0x3ffe1f9f
	.long	251335726                       ; 0xefb142e
	.long	2085586137                      ; 0x7c4f84d9
	.long	2534047421                      ; 0x970a7ebd
	.long	3151952274                      ; 0xbbdef992
	.long	534046859                       ; 0x1fd4e88b
	.long	3264754113                      ; 0xc29831c1
	.long	643987981                       ; 0x26627a0d
	.long	2131927230                      ; 0x7f12a0be
	.long	3229420672                      ; 0xc07d0c80
	.long	336348290                       ; 0x140c4482
	.long	3768781638                      ; 0xe0a30b46
	;; [unrolled: 3-line block ×3, first 2 shown]
	.long	4101748508                      ; 0xf47bb71c
	.long	3363559072                      ; 0xc87bd6a0
	;; [unrolled: 1-line block ×10, first 2 shown]
	.long	589138388                       ; 0x231d89d4
	.long	3960459504                      ; 0xec0fd0f0
	.long	3903077887                      ; 0xe8a43dff
	.long	4253882965                      ; 0xfd8d1a55
	.long	2107201112                      ; 0x7d995658
	.long	1437834675                      ; 0x55b39db3
	.long	3618095315                      ; 0xd7a7c0d3
	.long	2362822379                      ; 0x8cd5ceeb
	.long	3625360228                      ; 0xd8169b64
	.long	1891706458                      ; 0x70c1265a
	.long	2333451375                      ; 0x8b15a46f
	.long	4242907074                      ; 0xfce59fc2
	.long	2289503940                      ; 0x88770ec4
	.long	3638586625                      ; 0xd8e06d01
	.long	4137035018                      ; 0xf696250a
	.long	105573058                       ; 0x64aeac2
	.long	2075999861                      ; 0x7bbd3e75
	.long	1299938293                      ; 0x4d7b7bf5
	;; [unrolled: 1-line block ×7, first 2 shown]
	.long	701652515                       ; 0x29d25e23
	.long	3492326400                      ; 0xd028ac00
	.long	2406499346                      ; 0x8f704412
	.long	617315838                       ; 0x24cb7dfe
	.long	1627975589                      ; 0x6108efa5
	.long	1142040801                      ; 0x441228e1
	.long	524657043                       ; 0x1f45a193
	.long	832148261                       ; 0x31999325
	;; [unrolled: 1-line block ×3, first 2 shown]
	.long	3658645823                      ; 0xda12813f
	.long	944890908                       ; 0x3851e41c
	.long	3401589884                      ; 0xcac0247c
	.long	2588359262                      ; 0x9a473a5e
	;; [unrolled: 1-line block ×4, first 2 shown]
	.long	337891051                       ; 0x1423ceeb
	.long	2570694144                      ; 0x9939ae00
	.long	2876613091                      ; 0xab75a1e3
	;; [unrolled: 1-line block ×4, first 2 shown]
	.long	659063916                       ; 0x2748846c
	.long	3476967713                      ; 0xcf3e5121
	.long	1729385632                      ; 0x671454a0
	.long	207879231                       ; 0xc63fc3f
	.long	298556768                       ; 0x11cb9d60
	;; [unrolled: 1-line block ×3, first 2 shown]
	.long	2550001448                      ; 0x97fdef28
	.long	1820975095                      ; 0x6c89dff7
	.long	915640692                       ; 0x36939174
	.long	1014996737                      ; 0x3c7f9f01
	.long	1772334285                      ; 0x69a3accd
	;; [unrolled: 1-line block ×5, first 2 shown]
	.long	96395889                        ; 0x5bee271
	.long	2627441892                      ; 0x9c9b94e4
	.long	1854640523                      ; 0x6e8b918b
	;; [unrolled: 1-line block ×11, first 2 shown]
	.long	775170461                       ; 0x2e34299d
	.long	551343738                       ; 0x20dcd67a
	;; [unrolled: 1-line block ×3, first 2 shown]
	.long	2068601014                      ; 0x7b4c58b6
	.long	3109616684                      ; 0xb958fc2c
	;; [unrolled: 1-line block ×7, first 2 shown]
	.long	665433501                       ; 0x27a9b59d
	.long	1784274031                      ; 0x6a59dc6f
	.long	3436850186                      ; 0xccda2c0a
	;; [unrolled: 1-line block ×6, first 2 shown]
	.long	410458873                       ; 0x18771af9
	.long	2753059283                      ; 0xa41859d3
	.long	1669455215                      ; 0x6381dd6f
	;; [unrolled: 1-line block ×4, first 2 shown]
	.long	139804933                       ; 0x8554105
	.long	2786429190                      ; 0xa6158906
	.long	1738237971                      ; 0x679b6813
	;; [unrolled: 1-line block ×3, first 2 shown]
	.long	184570377                       ; 0xb005209
	.long	681864510                       ; 0x28a46d3e
	;; [unrolled: 1-line block ×5, first 2 shown]
	.long	2538721219                      ; 0x9751cfc3
	.long	4268394152                      ; 0xfe6a86a8
	;; [unrolled: 1-line block ×7, first 2 shown]
	.long	360259050                       ; 0x15791dea
	.long	3411542022                      ; 0xcb580006
	.long	3391499460                      ; 0xca262cc4
	.long	2509287180                      ; 0x9590af0c
	.long	970129219                       ; 0x39d2ff43
	.long	4055494275                      ; 0xf1b9ee83
	.long	1869391890                      ; 0x6f6ca812
	;; [unrolled: 1-line block ×7, first 2 shown]
	.long	14901408                        ; 0xe360a0
	.long	1890180396                      ; 0x70a9dd2c
	.long	1306701779                      ; 0x4de2afd3
	;; [unrolled: 1-line block ×3, first 2 shown]
	.long	174545194                       ; 0xa67592a
	.long	2830070006                      ; 0xa8af70f6
	.long	3867491336                      ; 0xe6853c08
	;; [unrolled: 1-line block ×3, first 2 shown]
	.long	702781070                       ; 0x29e3968e
	.long	4132973523                      ; 0xf6582bd3
	.long	806498245                       ; 0x30122fc5
	.long	3905876458                      ; 0xe8cef1ea
	.long	3499065005                      ; 0xd08f7ead
	;; [unrolled: 1-line block ×3, first 2 shown]
	.long	538076966                       ; 0x20126726
	.long	3769363696                      ; 0xe0abecf0
	.long	1241457026                      ; 0x49ff2182
	;; [unrolled: 1-line block ×7, first 2 shown]
	.long	534046859                       ; 0x1fd4e88b
	.long	1882037168                      ; 0x702d9bb0
	.long	643987981                       ; 0x26627a0d
	.long	2131927230                      ; 0x7f12a0be
	.long	3229420672                      ; 0xc07d0c80
	.long	336348290                       ; 0x140c4482
	.long	555833786                       ; 0x212159ba
	.long	3468816701                      ; 0xcec1f13d
	.long	849969290                       ; 0x32a9808a
	.long	2932801042                      ; 0xaecefe12
	.long	4101748508                      ; 0xf47bb71c
	;; [unrolled: 1-line block ×11, first 2 shown]
	.long	589138388                       ; 0x231d89d4
	.long	1596938176                      ; 0x5f2f57c0
	.long	3903077887                      ; 0xe8a43dff
	;; [unrolled: 1-line block ×10, first 2 shown]
	.long	174003035                       ; 0xa5f135b
	.long	2289503940                      ; 0x88770ec4
	.long	3638586625                      ; 0xd8e06d01
	;; [unrolled: 1-line block ×3, first 2 shown]
	.long	105573058                       ; 0x64aeac2
	.long	697023108                       ; 0x298bba84
	.long	1299938293                      ; 0x4d7b7bf5
	.long	3014895241                      ; 0xb3b3a689
	;; [unrolled: 1-line block ×6, first 2 shown]
	.long	701652515                       ; 0x29d25e23
	.long	3492326400                      ; 0xd028ac00
	.long	2406499346                      ; 0x8f704412
	.long	426422678                       ; 0x196ab196
	.long	1627975589                      ; 0x6108efa5
	.long	1142040801                      ; 0x441228e1
	.long	524657043                       ; 0x1f45a193
	.long	832148261                       ; 0x31999325
	.long	2461054373                      ; 0x92b0b5a5
	.long	3658645823                      ; 0xda12813f
	.long	944890908                       ; 0x3851e41c
	.long	3401589884                      ; 0xcac0247c
	.long	2588359262                      ; 0x9a473a5e
	;; [unrolled: 1-line block ×4, first 2 shown]
	.long	337891051                       ; 0x1423ceeb
	.long	2570694144                      ; 0x9939ae00
	.long	2876613091                      ; 0xab75a1e3
	.long	187151044                       ; 0xb27b2c4
	.long	2866570997                      ; 0xaadc66f5
	.long	659063916                       ; 0x2748846c
	.long	3476967713                      ; 0xcf3e5121
	.long	1729385632                      ; 0x671454a0
	;; [unrolled: 1-line block ×3, first 2 shown]
	.long	298556768                       ; 0x11cb9d60
	.long	311608860                       ; 0x1292c61c
	.long	2550001448                      ; 0x97fdef28
	.long	1820975095                      ; 0x6c89dff7
	.long	1806779934                      ; 0x6bb1461e
	.long	1014996737                      ; 0x3c7f9f01
	.long	1772334285                      ; 0x69a3accd
	.long	3257901643                      ; 0xc22fa24b
	.long	3193347552                      ; 0xbe569de0
	.long	2145947779                      ; 0x7fe89083
	.long	96395889                        ; 0x5bee271
	.long	2627441892                      ; 0x9c9b94e4
	.long	1854640523                      ; 0x6e8b918b
	;; [unrolled: 1-line block ×8, first 2 shown]
	.long	452746826                       ; 0x1afc5e4a
	.long	2360048518                      ; 0x8cab7b86
	.long	3572160580                      ; 0xd4ead844
	.long	775170461                       ; 0x2e34299d
	.long	551343738                       ; 0x20dcd67a
	;; [unrolled: 1-line block ×3, first 2 shown]
	.long	2068601014                      ; 0x7b4c58b6
	.long	3109616684                      ; 0xb958fc2c
	;; [unrolled: 1-line block ×4, first 2 shown]
	.long	22889155                        ; 0x15d42c3
	.long	1228011534                      ; 0x4931f80e
	.long	3660976089                      ; 0xda360fd9
	.long	665433501                       ; 0x27a9b59d
	.long	1784274031                      ; 0x6a59dc6f
	.long	227705324                       ; 0xd9281ec
	.long	1620580129                      ; 0x60981721
	.long	1696775162                      ; 0x6522bbfa
	;; [unrolled: 1-line block ×13, first 2 shown]
	.long	184570377                       ; 0xb005209
	.long	3310279262                      ; 0xc54eda5e
	.long	358796749                       ; 0x1562cdcd
	.long	770765754                       ; 0x2df0f3ba
	;; [unrolled: 1-line block ×3, first 2 shown]
	.long	2538721219                      ; 0x9751cfc3
	.long	2247224091                      ; 0x85f1eb1b
	;; [unrolled: 1-line block ×7, first 2 shown]
	.long	360259050                       ; 0x15791dea
	.long	3411542022                      ; 0xcb580006
	.long	3391499460                      ; 0xca262cc4
	;; [unrolled: 1-line block ×8, first 2 shown]
	.long	392724462                       ; 0x17687fee
	.long	3508750618                      ; 0xd123491a
	.long	4139486157                      ; 0xf6bb8bcd
	.long	14901408                        ; 0xe360a0
	.long	1890180396                      ; 0x70a9dd2c
	.long	2513331299                      ; 0x95ce6463
	;; [unrolled: 1-line block ×3, first 2 shown]
	.long	174545194                       ; 0xa67592a
	.long	2830070006                      ; 0xa8af70f6
	.long	3867491336                      ; 0xe6853c08
	.long	1887131931                      ; 0x707b591b
	.long	702781070                       ; 0x29e3968e
	.long	4132973523                      ; 0xf6582bd3
	.long	806498245                       ; 0x30122fc5
	.long	3905876458                      ; 0xe8cef1ea
	.long	2263606492                      ; 0x86ebe4dc
	;; [unrolled: 1-line block ×3, first 2 shown]
	.long	538076966                       ; 0x20126726
	.long	3769363696                      ; 0xe0abecf0
	.long	1241457026                      ; 0x49ff2182
	.long	170472774                       ; 0xa293546
	.long	3579114424                      ; 0xd554f3b8
	.long	2085586137                      ; 0x7c4f84d9
	.long	2534047421                      ; 0x970a7ebd
	.long	3151952274                      ; 0xbbdef992
	.long	1488165272                      ; 0x58b39998
	.long	1882037168                      ; 0x702d9bb0
	.long	643987981                       ; 0x26627a0d
	.long	2131927230                      ; 0x7f12a0be
	.long	3229420672                      ; 0xc07d0c80
	.long	1158405862                      ; 0x450bdee6
	.long	1469009373                      ; 0x578f4ddd
	.long	4117356830                      ; 0xf569e11e
	.long	4063868500                      ; 0xf239b654
	.long	2006417445                      ; 0x77978025
	.long	2976934394                      ; 0xb17069fa
	.long	2683607933                      ; 0x9ff49b7d
	.long	3174943272                      ; 0xbd3dca28
	.long	2099974138                      ; 0x7d2b0ffa
	.long	2250858961                      ; 0x862961d1
	.long	205251124                       ; 0xc3be234
	.long	84783688                        ; 0x50db248
	.long	1551294676                      ; 0x5c76e0d4
	.long	224349432                       ; 0xd5f4cf8
	.long	1893741756                      ; 0x70e034bc
	.long	3680361724                      ; 0xdb5ddcfc
	.long	561624088                       ; 0x2179b418
	.long	251553631                       ; 0xefe675f
	.long	1654870642                      ; 0x62a35272
	.long	2195380145                      ; 0x82dad7b1
	.long	866503297                       ; 0x33a5ca81
	.long	1814519294                      ; 0x6c275dfe
	.long	905566144                       ; 0x35f9d7c0
	.long	727763043                       ; 0x2b60c863
	.long	1910034093                      ; 0x71d8cead
	.long	1876316198                      ; 0x6fd65026
	;; [unrolled: 1-line block ×9, first 2 shown]
	.long	881594599                       ; 0x348c10e7
	.long	1010953695                      ; 0x3c41eddf
	.long	2768977700                      ; 0xa50b3f24
	;; [unrolled: 1-line block ×9, first 2 shown]
	.long	712581268                       ; 0x2a792094
	.long	3612116700                      ; 0xd74c86dc
	.long	3510601489                      ; 0xd13f8711
	;; [unrolled: 1-line block ×4, first 2 shown]
	.long	332485239                       ; 0x13d15277
	.long	280920979                       ; 0x10be8393
	;; [unrolled: 1-line block ×3, first 2 shown]
	.long	1863623285                      ; 0x6f14a275
	.long	654670865                       ; 0x27057c11
	.long	1706917935                      ; 0x65bd802f
	.long	1598315563                      ; 0x5f445c2b
	;; [unrolled: 1-line block ×4, first 2 shown]
	.long	635609792                       ; 0x25e2a2c0
	.long	55141757                        ; 0x349657d
	.long	4089183045                      ; 0xf3bbfb45
	.long	145257162                       ; 0x8a872ca
	.long	1921789879                      ; 0x728c2fb7
	.long	2833550514                      ; 0xa8e48cb2
	;; [unrolled: 1-line block ×14, first 2 shown]
	.long	399006034                       ; 0x17c85952
	.long	132680506                       ; 0x7e88b3a
	.long	31671249                        ; 0x1e343d1
	.long	1070386969                      ; 0x3fcccf19
	.long	2415113777                      ; 0x8ff3b631
	;; [unrolled: 1-line block ×5, first 2 shown]
	.long	785398955                       ; 0x2ed03cab
	.long	3335661823                      ; 0xc6d228ff
	.long	315496929                       ; 0x12ce19e1
	.long	1421907623                      ; 0x54c096a7
	.long	1802371914                      ; 0x6b6e034a
	;; [unrolled: 1-line block ×4, first 2 shown]
	.long	382902076                       ; 0x16d29f3c
	.long	3262814446                      ; 0xc27a98ee
	.long	1774244917                      ; 0x69c0d435
	;; [unrolled: 1-line block ×8, first 2 shown]
	.long	566587847                       ; 0x21c571c7
	.long	216051987                       ; 0xce0b113
	;; [unrolled: 1-line block ×3, first 2 shown]
	.long	2721884570                      ; 0xa23ca99a
	.long	3325443529                      ; 0xc6363dc9
	;; [unrolled: 1-line block ×12, first 2 shown]
	.long	539544394                       ; 0x2028cb4a
	.long	799741508                       ; 0x2fab1644
	.long	1192097712                      ; 0x470df7b0
	.long	2894663754                      ; 0xac89104a
	.long	567276527                       ; 0x21cff3ef
	.long	106814343                       ; 0x65ddb87
	.long	3985577014                      ; 0xed8f1436
	.long	422246623                       ; 0x192af8df
	.long	126568764                       ; 0x78b493c
	.long	4008211389                      ; 0xeee873bd
	.long	4037889581                      ; 0xf0ad4e2d
	;; [unrolled: 1-line block ×18, first 2 shown]
	.long	198749193                       ; 0xbd8ac09
	.long	574306951                       ; 0x223b3a87
	.long	3563262292                      ; 0xd4631154
	.long	3832626833                      ; 0xe4713e91
	.long	2349475213                      ; 0x8c0a258d
	.long	182567249                       ; 0xae1c151
	.long	1530390173                      ; 0x5b37e69d
	.long	2066055611                      ; 0x7b2581bb
	;; [unrolled: 1-line block ×8, first 2 shown]
	.long	527880959                       ; 0x1f76d2ff
	.long	1204112231                      ; 0x47c54b67
	.long	938004695                       ; 0x37e8d0d7
	.long	294300378                       ; 0x118aaada
	.long	1855457892                      ; 0x6e980a64
	.long	1438083560                      ; 0x55b769e8
	;; [unrolled: 1-line block ×3, first 2 shown]
	.long	703174449                       ; 0x29e99731
	.long	1296281193                      ; 0x4d43ae69
	.long	1386452240                      ; 0x52a39510
	;; [unrolled: 1-line block ×4, first 2 shown]
	.long	277697908                       ; 0x108d5574
	.long	2675939661                      ; 0x9f7f994d
	.long	3382564518                      ; 0xc99dd6a6
	.long	1639425457                      ; 0x61b7a5b1
	.long	2210719281                      ; 0x83c4e631
	.long	3173605115                      ; 0xbd295efb
	.long	1685375802                      ; 0x6474cb3a
	.long	1317820682                      ; 0x4e8c590a
	.long	1960916541                      ; 0x74e1363d
	.long	4230888182                      ; 0xfc2e3af6
	.long	1924357010                      ; 0x72b35b92
	.long	3322827982                      ; 0xc60e54ce
	.long	1663716994                      ; 0x632a4e82
	.long	976583570                       ; 0x3a357b92
	.long	4146230815                      ; 0xf722761f
	.long	525755678                       ; 0x1f56651e
	.long	3608894680                      ; 0xd71b5cd8
	.long	1715438458                      ; 0x663f837a
	;; [unrolled: 1-line block ×7, first 2 shown]
	.long	46988928                        ; 0x2ccfe80
	.long	2559411080                      ; 0x988d8388
	.long	2466723374                      ; 0x9307362e
	;; [unrolled: 1-line block ×7, first 2 shown]
	.long	978542234                       ; 0x3a535e9a
	.long	1667051478                      ; 0x635d2fd6
	.long	3393290740                      ; 0xca4181f4
	;; [unrolled: 1-line block ×8, first 2 shown]
	.long	757805987                       ; 0x2d2b33a3
	.long	619143288                       ; 0x24e76078
	.long	1165760536                      ; 0x457c1818
	.long	225099797                       ; 0xd6ac015
	.long	871754591                       ; 0x33f5eb5f
	.long	2065691940                      ; 0x7b1ff524
	.long	2016593817                      ; 0x7832c799
	;; [unrolled: 1-line block ×11, first 2 shown]
	.long	852561431                       ; 0x32d10e17
	.long	3559721965                      ; 0xd42d0bed
	.long	1403648739                      ; 0x53a9fae3
	.long	1772347635                      ; 0x69a3e0f3
	.long	1196457607                      ; 0x47507e87
	.long	462142253                       ; 0x1b8bbb2d
	.long	761176322                       ; 0x2d5ea102
	.long	2209893444                      ; 0x83b84c44
	.long	217724244                       ; 0xcfa3554
	.long	3356132814                      ; 0xc80a85ce
	.long	2838131962                      ; 0xa92a74fa
	;; [unrolled: 1-line block ×9, first 2 shown]
	.long	935551404                       ; 0x37c361ac
	.long	3057660021                      ; 0xb6403075
	.long	866672836                       ; 0x33a860c4
	.long	1119670384                      ; 0x42bcd070
	.long	1757615349                      ; 0x68c314f5
	.long	649402076                       ; 0x26b516dc
	.long	2814108193                      ; 0xa7bbe221
	.long	3312658713                      ; 0xc5732919
	;; [unrolled: 1-line block ×4, first 2 shown]
	.long	486762785                       ; 0x1d036921
	.long	2746076238                      ; 0xa3adcc4e
	.long	2134737126                      ; 0x7f3d80e6
	;; [unrolled: 1-line block ×10, first 2 shown]
	.long	926257211                       ; 0x3735903b
	.long	1940082331                      ; 0x73a34e9b
	.long	1024435222                      ; 0x3d0fa416
	.long	609478334                       ; 0x2453e6be
	.long	2501896844                      ; 0x951fea8c
	.long	518643063                       ; 0x1ee9dd77
	.long	4285619138                      ; 0xff715bc2
	.long	1054300997                      ; 0x3ed75b45
	;; [unrolled: 1-line block ×16, first 2 shown]
	.long	234630674                       ; 0xdfc2e12
	.long	1963357481                      ; 0x75067529
	.long	1118148435                      ; 0x42a59753
	;; [unrolled: 1-line block ×6, first 2 shown]
	.long	748709882                       ; 0x2ca067fa
	.long	3894824022                      ; 0xe8264c56
	.long	2575692519                      ; 0x9985f2e7
	.long	436044710                       ; 0x19fd83a6
	.long	3465014792                      ; 0xce87ee08
	.long	3686094502                      ; 0xdbb556a6
	;; [unrolled: 1-line block ×5, first 2 shown]
	.long	789471563                       ; 0x2f0e614b
	.long	853201732                       ; 0x32dad344
	.long	4119014483                      ; 0xf5832c53
	.long	1312738151                      ; 0x4e3ecb67
	;; [unrolled: 1-line block ×3, first 2 shown]
	.long	542908921                       ; 0x205c21f9
	.long	732294449                       ; 0x2ba5ed31
	.long	2519981401                      ; 0x9633dd59
	.long	1663929229                      ; 0x632d8b8d
	;; [unrolled: 1-line block ×5, first 2 shown]
	.long	353453260                       ; 0x151144cc
	.long	4074472601                      ; 0xf2db8499
	.long	1187952022                      ; 0x46ceb596
	;; [unrolled: 1-line block ×10, first 2 shown]
	.long	703174449                       ; 0x29e99731
	.long	1296281193                      ; 0x4d43ae69
	.long	2134413940                      ; 0x7f389274
	;; [unrolled: 1-line block ×4, first 2 shown]
	.long	277697908                       ; 0x108d5574
	.long	2675939661                      ; 0x9f7f994d
	.long	3817858752                      ; 0xe38fe6c0
	;; [unrolled: 1-line block ×12, first 2 shown]
	.long	976583570                       ; 0x3a357b92
	.long	4146230815                      ; 0xf722761f
	.long	525755678                       ; 0x1f56651e
	.long	3608894680                      ; 0xd71b5cd8
	;; [unrolled: 2-line block ×3, first 2 shown]
	.long	2845291872                      ; 0xa997b560
	.long	1115405802                      ; 0x427bbdea
	;; [unrolled: 1-line block ×3, first 2 shown]
	.long	591800699                       ; 0x2346297b
	.long	46988928                        ; 0x2ccfe80
	.long	2559411080                      ; 0x988d8388
	.long	2466723374                      ; 0x9307362e
	;; [unrolled: 1-line block ×7, first 2 shown]
	.long	978542234                       ; 0x3a535e9a
	.long	1284927074                      ; 0x4c966e62
	.long	3393290740                      ; 0xca4181f4
	;; [unrolled: 1-line block ×8, first 2 shown]
	.long	757805987                       ; 0x2d2b33a3
	.long	619143288                       ; 0x24e76078
	.long	1846615167                      ; 0x6e111c7f
	.long	225099797                       ; 0xd6ac015
	.long	871754591                       ; 0x33f5eb5f
	.long	2065691940                      ; 0x7b1ff524
	.long	2016593817                      ; 0x7832c799
	.long	1193455869                      ; 0x4722b0fd
	.long	2559080067                      ; 0x98887683
	.long	2048856253                      ; 0x7a1f10bd
	.long	3217759224                      ; 0xbfcb1bf8
	.long	2691334730                      ; 0xa06a824a
	.long	2665708717                      ; 0x9ee37cad
	.long	3356759591                      ; 0xc8141627
	.long	1570481357                      ; 0x5d9ba4cd
	.long	1097065360                      ; 0x4163e390
	.long	852561431                       ; 0x32d10e17
	.long	1652864273                      ; 0x6284b511
	.long	1403648739                      ; 0x53a9fae3
	;; [unrolled: 1-line block ×4, first 2 shown]
	.long	462142253                       ; 0x1b8bbb2d
	.long	1222855287                      ; 0x48e34a77
	.long	2209893444                      ; 0x83b84c44
	.long	217724244                       ; 0xcfa3554
	.long	3356132814                      ; 0xc80a85ce
	.long	2838131962                      ; 0xa92a74fa
	;; [unrolled: 1-line block ×9, first 2 shown]
	.long	935551404                       ; 0x37c361ac
	.long	3057660021                      ; 0xb6403075
	.long	866672836                       ; 0x33a860c4
	.long	75618353                        ; 0x481d831
	.long	1757615349                      ; 0x68c314f5
	.long	649402076                       ; 0x26b516dc
	.long	2814108193                      ; 0xa7bbe221
	.long	3312658713                      ; 0xc5732919
	;; [unrolled: 1-line block ×4, first 2 shown]
	.long	486762785                       ; 0x1d036921
	.long	2746076238                      ; 0xa3adcc4e
	.long	2134737126                      ; 0x7f3d80e6
	;; [unrolled: 1-line block ×7, first 2 shown]
	.long	624531676                       ; 0x253998dc
	.long	1874606681                      ; 0x6fbc3a59
	.long	1884940331                      ; 0x7059e82b
	.long	926257211                       ; 0x3735903b
	.long	1940082331                      ; 0x73a34e9b
	.long	3678479182                      ; 0xdb41234e
	.long	609478334                       ; 0x2453e6be
	.long	2501896844                      ; 0x951fea8c
	.long	518643063                       ; 0x1ee9dd77
	.long	4285619138                      ; 0xff715bc2
	.long	1725899979                      ; 0x66df24cb
	;; [unrolled: 1-line block ×6, first 2 shown]
	.long	702508101                       ; 0x29df6c45
	.long	3880316442                      ; 0xe748ee1a
	.long	1994336737                      ; 0x76df29e1
	;; [unrolled: 1-line block ×16, first 2 shown]
	.long	748709882                       ; 0x2ca067fa
	.long	3894824022                      ; 0xe8264c56
	.long	2575692519                      ; 0x9985f2e7
	.long	637240921                       ; 0x25fb8659
	.long	3465014792                      ; 0xce87ee08
	.long	3686094502                      ; 0xdbb556a6
	;; [unrolled: 1-line block ×5, first 2 shown]
	.long	789471563                       ; 0x2f0e614b
	.long	853201732                       ; 0x32dad344
	.long	4119014483                      ; 0xf5832c53
	.long	1312738151                      ; 0x4e3ecb67
	;; [unrolled: 1-line block ×3, first 2 shown]
	.long	542908921                       ; 0x205c21f9
	.long	732294449                       ; 0x2ba5ed31
	.long	2519981401                      ; 0x9633dd59
	.long	1663929229                      ; 0x632d8b8d
	;; [unrolled: 1-line block ×5, first 2 shown]
	.long	353453260                       ; 0x151144cc
	.long	4074472601                      ; 0xf2db8499
	.long	4249950407                      ; 0xfd5118c7
	;; [unrolled: 1-line block ×10, first 2 shown]
	.long	703174449                       ; 0x29e99731
	.long	1679528518                      ; 0x641b9246
	.long	2134413940                      ; 0x7f389274
	;; [unrolled: 1-line block ×4, first 2 shown]
	.long	277697908                       ; 0x108d5574
	.long	3417107827                      ; 0xcbaced73
	.long	3817858752                      ; 0xe38fe6c0
	;; [unrolled: 1-line block ×12, first 2 shown]
	.long	976583570                       ; 0x3a357b92
	.long	4146230815                      ; 0xf722761f
	.long	525755678                       ; 0x1f56651e
	.long	1122319464                      ; 0x42e53c68
	;; [unrolled: 2-line block ×3, first 2 shown]
	.long	2845291872                      ; 0xa997b560
	.long	1115405802                      ; 0x427bbdea
	.long	205855120                       ; 0xc451990
	.long	591800699                       ; 0x2346297b
	.long	46988928                        ; 0x2ccfe80
	.long	2559411080                      ; 0x988d8388
	.long	2466723374                      ; 0x9307362e
	;; [unrolled: 1-line block ×16, first 2 shown]
	.long	757805987                       ; 0x2d2b33a3
	.long	3191753865                      ; 0xbe3e4c89
	.long	1846615167                      ; 0x6e111c7f
	.long	225099797                       ; 0xd6ac015
	.long	871754591                       ; 0x33f5eb5f
	.long	2065691940                      ; 0x7b1ff524
	.long	1301630578                      ; 0x4d954e72
	;; [unrolled: 1-line block ×19, first 2 shown]
	.long	217724244                       ; 0xcfa3554
	.long	3356132814                      ; 0xc80a85ce
	.long	1954043011                      ; 0x74785483
	;; [unrolled: 1-line block ×9, first 2 shown]
	.long	935551404                       ; 0x37c361ac
	.long	3057660021                      ; 0xb6403075
	.long	3331206175                      ; 0xc68e2c1f
	.long	75618353                        ; 0x481d831
	.long	1757615349                      ; 0x68c314f5
	.long	649402076                       ; 0x26b516dc
	.long	2814108193                      ; 0xa7bbe221
	.long	1313890357                      ; 0x4e506035
	;; [unrolled: 1-line block ×4, first 2 shown]
	.long	486762785                       ; 0x1d036921
	.long	2746076238                      ; 0xa3adcc4e
	.long	2023213803                      ; 0x7897caeb
	;; [unrolled: 1-line block ×6, first 2 shown]
	.long	392313450                       ; 0x17623a6a
	.long	624531676                       ; 0x253998dc
	.long	1874606681                      ; 0x6fbc3a59
	.long	1884940331                      ; 0x7059e82b
	.long	926257211                       ; 0x3735903b
	.long	3369012310                      ; 0xc8cf0c56
	.long	3678479182                      ; 0xdb41234e
	.long	609478334                       ; 0x2453e6be
	.long	2501896844                      ; 0x951fea8c
	.long	518643063                       ; 0x1ee9dd77
	.long	3638013610                      ; 0xd8d7aeaa
	.long	1725899979                      ; 0x66df24cb
	;; [unrolled: 1-line block ×5, first 2 shown]
	.long	429282096                       ; 0x19965330
	.long	702508101                       ; 0x29df6c45
	.long	3880316442                      ; 0xe748ee1a
	.long	1994336737                      ; 0x76df29e1
	.long	1025147784                      ; 0x3d1a8388
	.long	1217486411                      ; 0x48915e4b
	.long	4212959134                      ; 0xfb1ca79e
	.long	3298872174                      ; 0xc4a0cb6e
	.long	3744513628                      ; 0xdf30be5c
	.long	2918990402                      ; 0xadfc4242
	.long	1279832521                      ; 0x4c48b1c9
	.long	1782150764                      ; 0x6a39766c
	.long	1963357481                      ; 0x75067529
	.long	1118148435                      ; 0x42a59753
	.long	2658522312                      ; 0x9e75d4c8
	.long	2379123622                      ; 0x8dce8ba6
	.long	3330122355                      ; 0xc67da273
	.long	1210050812                      ; 0x481fe8fc
	.long	748709882                       ; 0x2ca067fa
	.long	3894824022                      ; 0xe8264c56
	.long	3987054169                      ; 0xeda59e59
	.long	637240921                       ; 0x25fb8659
	.long	3465014792                      ; 0xce87ee08
	.long	3686094502                      ; 0xdbb556a6
	;; [unrolled: 1-line block ×5, first 2 shown]
	.long	789471563                       ; 0x2f0e614b
	.long	853201732                       ; 0x32dad344
	.long	4119014483                      ; 0xf5832c53
	.long	1746447311                      ; 0x6818abcf
	;; [unrolled: 1-line block ×3, first 2 shown]
	.long	542908921                       ; 0x205c21f9
	.long	732294449                       ; 0x2ba5ed31
	.long	2519981401                      ; 0x9633dd59
	.long	1908715414                      ; 0x71c4af96
	.long	2696317636                      ; 0xa0b68ac4
	.long	3038382188                      ; 0xb51a086c
	.long	3182489020                      ; 0xbdb0edbc
	.long	353453260                       ; 0x151144cc
	.long	2132930364                      ; 0x7f21ef3c
	.long	4249950407                      ; 0xfd5118c7
	.long	2118553383                      ; 0x7e468f27
	.long	1068338764                      ; 0x3fad8e4c
	.long	3699144039                      ; 0xdc7c7567
	;; [unrolled: 6-line block ×3, first 2 shown]
	.long	1679528518                      ; 0x641b9246
	.long	2134413940                      ; 0x7f389274
	;; [unrolled: 1-line block ×4, first 2 shown]
	.long	31944135                        ; 0x1e76dc7
	.long	3417107827                      ; 0xcbaced73
	.long	3817858752                      ; 0xe38fe6c0
	;; [unrolled: 1-line block ×12, first 2 shown]
	.long	976583570                       ; 0x3a357b92
	.long	4146230815                      ; 0xf722761f
	.long	3948659885                      ; 0xeb5bc4ad
	;; [unrolled: 1-line block ×3, first 2 shown]
	.long	524232549                       ; 0x1f3f2765
	.long	1519478303                      ; 0x5a91661f
	.long	2845291872                      ; 0xa997b560
	;; [unrolled: 1-line block ×3, first 2 shown]
	.long	205855120                       ; 0xc451990
	.long	591800699                       ; 0x2346297b
	.long	46988928                        ; 0x2ccfe80
	.long	2559411080                      ; 0x988d8388
	.long	3645011109                      ; 0xd94274a5
	;; [unrolled: 1-line block ×19, first 2 shown]
	.long	225099797                       ; 0xd6ac015
	.long	871754591                       ; 0x33f5eb5f
	;; [unrolled: 1-line block ×3, first 2 shown]
	.long	1301630578                      ; 0x4d954e72
	.long	1193455869                      ; 0x4722b0fd
	;; [unrolled: 1-line block ×18, first 2 shown]
	.long	217724244                       ; 0xcfa3554
	.long	4164333189                      ; 0xf836ae85
	.long	1954043011                      ; 0x74785483
	;; [unrolled: 1-line block ×9, first 2 shown]
	.long	935551404                       ; 0x37c361ac
	.long	1258856668                      ; 0x4b08a0dc
	.long	3331206175                      ; 0xc68e2c1f
	.long	75618353                        ; 0x481d831
	.long	1757615349                      ; 0x68c314f5
	.long	649402076                       ; 0x26b516dc
	.long	772455867                       ; 0x2e0abdbb
	.long	1313890357                      ; 0x4e506035
	.long	3975515213                      ; 0xecf58c4d
	;; [unrolled: 1-line block ×3, first 2 shown]
	.long	486762785                       ; 0x1d036921
	.long	3671941628                      ; 0xdadd61fc
	.long	2023213803                      ; 0x7897caeb
	.long	3251020123                      ; 0xc1c6a15b
	.long	3151832629                      ; 0xbbdd2635
	.long	2419694200                      ; 0x90399a78
	.long	4264015999                      ; 0xfe27b87f
	.long	392313450                       ; 0x17623a6a
	.long	624531676                       ; 0x253998dc
	.long	1874606681                      ; 0x6fbc3a59
	.long	1884940331                      ; 0x7059e82b
	;; [unrolled: 1-line block ×5, first 2 shown]
	.long	609478334                       ; 0x2453e6be
	.long	2501896844                      ; 0x951fea8c
	.long	2131090271                      ; 0x7f05db5f
	.long	3638013610                      ; 0xd8d7aeaa
	.long	1725899979                      ; 0x66df24cb
	.long	4024681853                      ; 0xefe3c57d
	.long	2287236199                      ; 0x88547467
	.long	455349830                       ; 0x1b241646
	.long	429282096                       ; 0x19965330
	;; [unrolled: 1-line block ×3, first 2 shown]
	.long	3880316442                      ; 0xe748ee1a
	.long	1994336737                      ; 0x76df29e1
	;; [unrolled: 1-line block ×16, first 2 shown]
	.long	748709882                       ; 0x2ca067fa
	.long	2506587900                      ; 0x95677efc
	.long	3987054169                      ; 0xeda59e59
	.long	637240921                       ; 0x25fb8659
	.long	3465014792                      ; 0xce87ee08
	.long	3686094502                      ; 0xdbb556a6
	;; [unrolled: 1-line block ×5, first 2 shown]
	.long	789471563                       ; 0x2f0e614b
	.long	853201732                       ; 0x32dad344
	.long	3472479264                      ; 0xcef9d420
	.long	1746447311                      ; 0x6818abcf
	;; [unrolled: 1-line block ×3, first 2 shown]
	.long	542908921                       ; 0x205c21f9
	.long	732294449                       ; 0x2ba5ed31
	;; [unrolled: 1-line block ×3, first 2 shown]
	.long	1908715414                      ; 0x71c4af96
	.long	2696317636                      ; 0xa0b68ac4
	.long	3038382188                      ; 0xb51a086c
	.long	3182489020                      ; 0xbdb0edbc
	.long	174113867                       ; 0xa60c44b
	.long	2132930364                      ; 0x7f21ef3c
	.long	4249950407                      ; 0xfd5118c7
	;; [unrolled: 1-line block ×11, first 2 shown]
	.long	167685322                       ; 0x9feacca
	.long	1848482402                      ; 0x6e2d9a62
	.long	3252973254                      ; 0xc1e46ec6
	.long	638064461                       ; 0x2608174d
	.long	1599254200                      ; 0x5f52aeb8
	.long	2525050247                      ; 0x96813587
	;; [unrolled: 1-line block ×8, first 2 shown]
	.long	438338168                       ; 0x1a208278
	.long	2326605175                      ; 0x8aad2d77
	.long	2846648724                      ; 0xa9ac6994
	;; [unrolled: 1-line block ×3, first 2 shown]
	.long	287840506                       ; 0x112818fa
	.long	3218295001                      ; 0xbfd348d9
	.long	2562000356                      ; 0x98b505e4
	.long	574276928                       ; 0x223ac540
	.long	418096348                       ; 0x18eba4dc
	.long	1798854554                      ; 0x6b38579a
	.long	1913561074                      ; 0x720e9ff2
	;; [unrolled: 1-line block ×3, first 2 shown]
	.long	41907788                        ; 0x27f764c
	.long	3535708035                      ; 0xd2be9f83
	.long	1240819558                      ; 0x49f56766
	.long	208810147                       ; 0xc7230a3
	.long	4062740265                      ; 0xf2287f29
	.long	451865782                       ; 0x1aeeecb6
	.long	2652508890                      ; 0x9e1a12da
	.long	3579720859                      ; 0xd55e349b
	;; [unrolled: 1-line block ×18, first 2 shown]
	.long	830793530                       ; 0x3184e73a
	.long	1289366065                      ; 0x4cda2a31
	.long	3268392251                      ; 0xc2cfb53b
	;; [unrolled: 1-line block ×22, first 2 shown]
	.long	205278284                       ; 0xc3c4c4c
	.long	793062897                       ; 0x2f452df1
	;; [unrolled: 1-line block ×3, first 2 shown]
	.long	69164746                        ; 0x41f5eca
	.long	2218046933                      ; 0x8434b5d5
	.long	4206182754                      ; 0xfab54162
	;; [unrolled: 1-line block ×6, first 2 shown]
	.long	168681204                       ; 0xa0ddef4
	.long	3905840714                      ; 0xe8ce664a
	.long	4098714445                      ; 0xf44d6b4d
	;; [unrolled: 1-line block ×12, first 2 shown]
	.long	11331065                        ; 0xace5f9
	.long	2250669421                      ; 0x86267d6d
	.long	3003852975                      ; 0xb30b28af
	.long	2145739501                      ; 0x7fe562ed
	.long	1627177260                      ; 0x60fcc12c
	.long	994260425                       ; 0x3b4335c9
	.long	1479134620                      ; 0x5829cd9c
	.long	2315299915                      ; 0x8a00ac4b
	;; [unrolled: 1-line block ×3, first 2 shown]
	.long	285960682                       ; 0x110b69ea
	.long	3801150032                      ; 0xe290f250
	.long	3948820512                      ; 0xeb5e3820
	;; [unrolled: 1-line block ×7, first 2 shown]
	.long	681418791                       ; 0x289da027
	.long	2077804400                      ; 0x7bd8c770
	.long	1963479724                      ; 0x750852ac
	;; [unrolled: 1-line block ×3, first 2 shown]
	.long	269798686                       ; 0x1014cd1e
	.long	2740088859                      ; 0xa352701b
	.long	1974178779                      ; 0x75ab93db
	;; [unrolled: 1-line block ×4, first 2 shown]
	.long	157827737                       ; 0x9684299
	.long	3855390825                      ; 0xe5cc9869
	.long	2779173093                      ; 0xa5a6d0e5
	;; [unrolled: 1-line block ×7, first 2 shown]
	.long	472195874                       ; 0x1c252322
	.long	57835121                        ; 0x3727e71
	.long	1854343116                      ; 0x6e8707cc
	.long	3020785997                      ; 0xb40d894d
	;; [unrolled: 1-line block ×6, first 2 shown]
	.long	307833006                       ; 0x125928ae
	.long	1029130725                      ; 0x3d5749e5
	.long	545051507                       ; 0x207cd373
	.long	4001695571                      ; 0xee850753
	.long	2258480284                      ; 0x869dac9c
	.long	896286117                       ; 0x356c3da5
	.long	355474524                       ; 0x15301c5c
	.long	2514583184                      ; 0x95e17e90
	.long	2997458384                      ; 0xb2a995d0
	;; [unrolled: 1-line block ×8, first 2 shown]
	.long	35655711                        ; 0x220101f
	.long	2087100216                      ; 0x7c669f38
	.long	1671155                         ; 0x197ff3
	.long	472949658                       ; 0x1c30a39a
	.long	148656515                       ; 0x8dc5183
	.long	1640075411                      ; 0x61c19093
	.long	930771231                       ; 0x377a711f
	.long	1601854390                      ; 0x5f7a5bb6
	;; [unrolled: 2-line block ×3, first 2 shown]
	.long	3708325970                      ; 0xdd089052
	.long	1688441844                      ; 0x64a393f4
	.long	736452516                       ; 0x2be55fa4
	.long	100585026                       ; 0x5fece42
	.long	1154373750                      ; 0x44ce5876
	.long	4029833741                      ; 0xf032620d
	;; [unrolled: 1-line block ×3, first 2 shown]
	.long	192349301                       ; 0xb770475
	.long	3804215437                      ; 0xe2bfb88d
	.long	909027311                       ; 0x362ea7ef
	.long	2896874106                      ; 0xacaaca7a
	.long	3567276364                      ; 0xd4a0514c
	;; [unrolled: 1-line block ×7, first 2 shown]
	.long	228734829                       ; 0xda2376d
	.long	577956164                       ; 0x2272e944
	.long	2078807284                      ; 0x7be814f4
	.long	1005987081                      ; 0x3bf62509
	;; [unrolled: 1-line block ×3, first 2 shown]
	.long	112604551                       ; 0x6b63587
	.long	3865074232                      ; 0xe6605a38
	.long	3776350052                      ; 0xe1168764
	;; [unrolled: 1-line block ×4, first 2 shown]
	.long	910887552                       ; 0x364b0a80
	.long	4127297396                      ; 0xf6018f74
	.long	851240323                       ; 0x32bce583
	.long	3136588838                      ; 0xbaf48c26
	.long	1639013085                      ; 0x61b15add
	;; [unrolled: 1-line block ×3, first 2 shown]
	.long	639126620                       ; 0x26184c5c
	.long	2501600773                      ; 0x951b6605
	.long	3174842042                      ; 0xbd3c3eba
	;; [unrolled: 1-line block ×3, first 2 shown]
	.long	80596481                        ; 0x4cdce01
	.long	126970446                       ; 0x7916a4e
	.long	2184239961                      ; 0x8230db59
	.long	1448001095                      ; 0x564ebe47
	.long	689252599                       ; 0x291528f7
	.long	1087028487                      ; 0x40cabd07
	.long	2905348107                      ; 0xad2c180b
	;; [unrolled: 1-line block ×7, first 2 shown]
	.long	754508313                       ; 0x2cf8e219
	.long	2321393187                      ; 0x8a5da623
	.long	787043244                       ; 0x2ee953ac
	.long	2575809693                      ; 0x9987bc9d
	.long	4172462501                      ; 0xf8b2b9a5
	;; [unrolled: 1-line block ×7, first 2 shown]
	.long	901605762                       ; 0x35bd6982
	.long	676398674                       ; 0x28510652
	.long	2849283587                      ; 0xa9d49e03
	.long	2992300101                      ; 0xb25ae045
	;; [unrolled: 1-line block ×13, first 2 shown]
	.long	564097935                       ; 0x219f738f
	.long	3552741248                      ; 0xd3c28780
	.long	2809901827                      ; 0xa77bb303
	;; [unrolled: 1-line block ×3, first 2 shown]
	.long	860214490                       ; 0x3345d4da
	.long	2168366043                      ; 0x813ea3db
	.long	2681035029                      ; 0x9fcd5915
	;; [unrolled: 1-line block ×4, first 2 shown]
	.long	554804421                       ; 0x2111a4c5
	.long	1571065517                      ; 0x5da48ead
	.long	3322453053                      ; 0xc6089c3d
	;; [unrolled: 1-line block ×3, first 2 shown]
	.long	126415290                       ; 0x788f1ba
	.long	980853251                       ; 0x3a76a203
	.long	1531963815                      ; 0x5b4fe9a7
	.long	3237470129                      ; 0xc0f7dfb1
	;; [unrolled: 1-line block ×6, first 2 shown]
	.long	828927962                       ; 0x31686fda
	.long	2170245718                      ; 0x815b5256
	.long	1090142292                      ; 0x40fa4054
	;; [unrolled: 1-line block ×6, first 2 shown]
	.long	91588630                        ; 0x5758816
	.long	3122782857                      ; 0xba21e289
	.long	929883614                       ; 0x376ce5de
	.long	694999008                       ; 0x296cd7e0
	.long	1472139068                      ; 0x57bf0f3c
	.long	1246663706                      ; 0x4a4e941a
	;; [unrolled: 1-line block ×4, first 2 shown]
	.long	186199942                       ; 0xb192f86
	.long	3890621040                      ; 0xe7e62a70
	.long	229752655                       ; 0xdb1bf4f
	.long	1011692880                      ; 0x3c4d3550
	.long	2791828564                      ; 0xa667ec54
	;; [unrolled: 1-line block ×3, first 2 shown]
	.long	791005643                       ; 0x2f25c9cb
	.long	1754509337                      ; 0x6893b019
	.long	2321492983                      ; 0x8a5f2bf7
	.long	3512328605                      ; 0xd159e19d
	.long	1294405891                      ; 0x4d271103
	.long	2845189858                      ; 0xa99626e2
	.long	434175992                       ; 0x19e0fff8
	.long	3155484007                      ; 0xbc14dd67
	.long	2306406482                      ; 0x8978f852
	;; [unrolled: 1-line block ×3, first 2 shown]
	.long	22971924                        ; 0x15e8614
	.long	1521633702                      ; 0x5ab249a6
	.long	2366802562                      ; 0x8d128a82
	.long	399245037                       ; 0x17cbfeed
	.long	2833224222                      ; 0xa8df921e
	.long	2507478835                      ; 0x95751733
	.long	3231711673                      ; 0xc0a001b9
	.long	3784114896                      ; 0xe18d02d0
	.long	1927919696                      ; 0x72e9b850
	.long	783802899                       ; 0x2eb7e213
	.long	3408133710                      ; 0xcb23fe4e
	.long	2278711709                      ; 0x87d2619d
	.long	3001078924                      ; 0xb2e0d48c
	.long	1223320630                      ; 0x48ea6436
	.long	3246830042                      ; 0xc186b1da
	.long	943189685                       ; 0x3837eeb5
	.long	4062534962                      ; 0xf2255d32
	.long	1039971013                      ; 0x3dfcb2c5
	.long	2342241593                      ; 0x8b9bc539
	.long	3551623946                      ; 0xd3b17b0a
	.long	322017346                       ; 0x13319842
	.long	3585779636                      ; 0xd5baa7b4
	.long	81127429                        ; 0x4d5e805
	.long	3549929990                      ; 0xd397a206
	.long	2886997195                      ; 0xac1414cb
	;; [unrolled: 1-line block ×4, first 2 shown]
	.long	1671155                         ; 0x197ff3
	.long	472949658                       ; 0x1c30a39a
	.long	148656515                       ; 0x8dc5183
	.long	1640075411                      ; 0x61c19093
	.long	3772042754                      ; 0xe0d4ce02
	;; [unrolled: 1-line block ×3, first 2 shown]
	.long	471598090                       ; 0x1c1c040a
	.long	2013359012                      ; 0x78016ba4
	.long	3708325970                      ; 0xdd089052
	.long	321630853                       ; 0x132bb285
	.long	736452516                       ; 0x2be55fa4
	;; [unrolled: 1-line block ×3, first 2 shown]
	.long	1154373750                      ; 0x44ce5876
	.long	4029833741                      ; 0xf032620d
	;; [unrolled: 1-line block ×3, first 2 shown]
	.long	192349301                       ; 0xb770475
	.long	3804215437                      ; 0xe2bfb88d
	.long	909027311                       ; 0x362ea7ef
	.long	2896874106                      ; 0xacaaca7a
	.long	1138131968                      ; 0x43d68400
	;; [unrolled: 1-line block ×7, first 2 shown]
	.long	228734829                       ; 0xda2376d
	.long	577956164                       ; 0x2272e944
	.long	2078807284                      ; 0x7be814f4
	.long	1005987081                      ; 0x3bf62509
	;; [unrolled: 1-line block ×3, first 2 shown]
	.long	112604551                       ; 0x6b63587
	.long	3865074232                      ; 0xe6605a38
	.long	3776350052                      ; 0xe1168764
	;; [unrolled: 1-line block ×3, first 2 shown]
	.long	626049886                       ; 0x2550c35e
	.long	910887552                       ; 0x364b0a80
	.long	4127297396                      ; 0xf6018f74
	.long	851240323                       ; 0x32bce583
	.long	3136588838                      ; 0xbaf48c26
	.long	2142891352                      ; 0x7fb9ed58
	;; [unrolled: 1-line block ×3, first 2 shown]
	.long	639126620                       ; 0x26184c5c
	.long	2501600773                      ; 0x951b6605
	.long	3174842042                      ; 0xbd3c3eba
	;; [unrolled: 1-line block ×3, first 2 shown]
	.long	80596481                        ; 0x4cdce01
	.long	126970446                       ; 0x7916a4e
	.long	2184239961                      ; 0x8230db59
	.long	1448001095                      ; 0x564ebe47
	;; [unrolled: 1-line block ×7, first 2 shown]
	.long	14860817                        ; 0xe2c211
	.long	2201723284                      ; 0x833ba194
	.long	3908202640                      ; 0xe8f27090
	.long	754508313                       ; 0x2cf8e219
	.long	2321393187                      ; 0x8a5da623
	.long	90540547                        ; 0x5658a03
	.long	2575809693                      ; 0x9987bc9d
	.long	4172462501                      ; 0xf8b2b9a5
	;; [unrolled: 1-line block ×4, first 2 shown]
	.long	56239065                        ; 0x35a23d9
	.long	3575249683                      ; 0xd519fb13
	.long	2939319477                      ; 0xaf3274b5
	.long	901605762                       ; 0x35bd6982
	.long	676398674                       ; 0x28510652
	;; [unrolled: 1-line block ×3, first 2 shown]
	.long	2992300101                      ; 0xb25ae045
	.long	1513271778                      ; 0x5a32b1e2
	;; [unrolled: 1-line block ×12, first 2 shown]
	.long	564097935                       ; 0x219f738f
	.long	3552741248                      ; 0xd3c28780
	.long	2124229268                      ; 0x7e9d2a94
	;; [unrolled: 1-line block ×3, first 2 shown]
	.long	860214490                       ; 0x3345d4da
	.long	2168366043                      ; 0x813ea3db
	.long	2681035029                      ; 0x9fcd5915
	;; [unrolled: 1-line block ×4, first 2 shown]
	.long	554804421                       ; 0x2111a4c5
	.long	1571065517                      ; 0x5da48ead
	.long	3322453053                      ; 0xc6089c3d
	;; [unrolled: 1-line block ×3, first 2 shown]
	.long	126415290                       ; 0x788f1ba
	.long	980853251                       ; 0x3a76a203
	.long	1531963815                      ; 0x5b4fe9a7
	.long	3237470129                      ; 0xc0f7dfb1
	;; [unrolled: 1-line block ×6, first 2 shown]
	.long	828927962                       ; 0x31686fda
	.long	3447807375                      ; 0xcd815d8f
	.long	1090142292                      ; 0x40fa4054
	.long	1667375106                      ; 0x63622002
	.long	2522840205                      ; 0x965f7c8d
	.long	4047872402                      ; 0xf145a192
	.long	2255362927                      ; 0x866e1b6f
	.long	91588630                        ; 0x5758816
	.long	3122782857                      ; 0xba21e289
	.long	929883614                       ; 0x376ce5de
	.long	694999008                       ; 0x296cd7e0
	.long	4135967848                      ; 0xf685dc68
	.long	1246663706                      ; 0x4a4e941a
	;; [unrolled: 1-line block ×4, first 2 shown]
	.long	186199942                       ; 0xb192f86
	.long	4182379872                      ; 0xf94a0d60
	.long	229752655                       ; 0xdb1bf4f
	.long	1011692880                      ; 0x3c4d3550
	.long	2791828564                      ; 0xa667ec54
	;; [unrolled: 1-line block ×3, first 2 shown]
	.long	397062412                       ; 0x17aab10c
	.long	1754509337                      ; 0x6893b019
	.long	2321492983                      ; 0x8a5f2bf7
	;; [unrolled: 1-line block ×5, first 2 shown]
	.long	434175992                       ; 0x19e0fff8
	.long	3155484007                      ; 0xbc14dd67
	.long	2306406482                      ; 0x8978f852
	;; [unrolled: 1-line block ×6, first 2 shown]
	.long	399245037                       ; 0x17cbfeed
	.long	2833224222                      ; 0xa8df921e
	.long	76017436                        ; 0x487ef1c
	.long	3231711673                      ; 0xc0a001b9
	.long	3784114896                      ; 0xe18d02d0
	;; [unrolled: 1-line block ×3, first 2 shown]
	.long	783802899                       ; 0x2eb7e213
	.long	2157090897                      ; 0x80929851
	.long	2278711709                      ; 0x87d2619d
	.long	3001078924                      ; 0xb2e0d48c
	.long	1223320630                      ; 0x48ea6436
	.long	3246830042                      ; 0xc186b1da
	.long	1197195551                      ; 0x475bc11f
	.long	4062534962                      ; 0xf2255d32
	.long	1039971013                      ; 0x3dfcb2c5
	.long	2342241593                      ; 0x8b9bc539
	.long	3551623946                      ; 0xd3b17b0a
	.long	63853850                        ; 0x3ce551a
	.long	3585779636                      ; 0xd5baa7b4
	.long	81127429                        ; 0x4d5e805
	.long	3549929990                      ; 0xd397a206
	.long	2886997195                      ; 0xac1414cb
	;; [unrolled: 1-line block ×4, first 2 shown]
	.long	1671155                         ; 0x197ff3
	.long	472949658                       ; 0x1c30a39a
	.long	148656515                       ; 0x8dc5183
	.long	3600963048                      ; 0xd6a255e8
	.long	3772042754                      ; 0xe0d4ce02
	;; [unrolled: 1-line block ×3, first 2 shown]
	.long	471598090                       ; 0x1c1c040a
	.long	2013359012                      ; 0x78016ba4
	.long	1181513377                      ; 0x466c76a1
	.long	321630853                       ; 0x132bb285
	.long	736452516                       ; 0x2be55fa4
	;; [unrolled: 1-line block ×3, first 2 shown]
	.long	1154373750                      ; 0x44ce5876
	.long	2323956092                      ; 0x8a84c17c
	;; [unrolled: 1-line block ×3, first 2 shown]
	.long	192349301                       ; 0xb770475
	.long	3804215437                      ; 0xe2bfb88d
	.long	909027311                       ; 0x362ea7ef
	.long	2993842723                      ; 0xb2726a23
	.long	1138131968                      ; 0x43d68400
	;; [unrolled: 1-line block ×7, first 2 shown]
	.long	228734829                       ; 0xda2376d
	.long	577956164                       ; 0x2272e944
	.long	2078807284                      ; 0x7be814f4
	.long	1924581773                      ; 0x72b6c98d
	;; [unrolled: 1-line block ×3, first 2 shown]
	.long	112604551                       ; 0x6b63587
	.long	3865074232                      ; 0xe6605a38
	.long	3776350052                      ; 0xe1168764
	;; [unrolled: 1-line block ×3, first 2 shown]
	.long	626049886                       ; 0x2550c35e
	.long	910887552                       ; 0x364b0a80
	.long	4127297396                      ; 0xf6018f74
	.long	851240323                       ; 0x32bce583
	.long	547797457                       ; 0x20a6b9d1
	.long	2142891352                      ; 0x7fb9ed58
	.long	1154068086                      ; 0x44c9ae76
	.long	639126620                       ; 0x26184c5c
	.long	2501600773                      ; 0x951b6605
	.long	2391654498                      ; 0x8e8dc062
	.long	3342870442                      ; 0xc74027aa
	.long	80596481                        ; 0x4cdce01
	.long	126970446                       ; 0x7916a4e
	.long	2184239961                      ; 0x8230db59
	.long	824575673                       ; 0x312606b9
	.long	3399719246                      ; 0xcaa3994e
	.long	1087028487                      ; 0x40cabd07
	;; [unrolled: 1-line block ×4, first 2 shown]
	.long	740197255                       ; 0x2c1e8387
	.long	14860817                        ; 0xe2c211
	.long	2201723284                      ; 0x833ba194
	.long	3908202640                      ; 0xe8f27090
	.long	754508313                       ; 0x2cf8e219
	.long	4133980283                      ; 0xf667887b
	.long	90540547                        ; 0x5658a03
	.long	2575809693                      ; 0x9987bc9d
	.long	4172462501                      ; 0xf8b2b9a5
	;; [unrolled: 1-line block ×3, first 2 shown]
	.long	831222037                       ; 0x318b7115
	.long	56239065                        ; 0x35a23d9
	.long	3575249683                      ; 0xd519fb13
	.long	2939319477                      ; 0xaf3274b5
	.long	901605762                       ; 0x35bd6982
	.long	1998632674                      ; 0x7720b6e2
	.long	412461711                       ; 0x1895aa8f
	.long	2992300101                      ; 0xb25ae045
	.long	1513271778                      ; 0x5a32b1e2
	;; [unrolled: 1-line block ×3, first 2 shown]
	.long	969149327                       ; 0x39c40b8f
	.long	3660190396                      ; 0xda2a12bc
	.long	2739211008                      ; 0xa3450b00
	;; [unrolled: 1-line block ×8, first 2 shown]
	.long	564097935                       ; 0x219f738f
	.long	3378471970                      ; 0xc95f6422
	.long	2124229268                      ; 0x7e9d2a94
	;; [unrolled: 1-line block ×3, first 2 shown]
	.long	860214490                       ; 0x3345d4da
	.long	2168366043                      ; 0x813ea3db
	.long	867190357                       ; 0x33b04655
	.long	4086980935                      ; 0xf39a6147
	.long	2902522885                      ; 0xad00fc05
	.long	554804421                       ; 0x2111a4c5
	.long	1571065517                      ; 0x5da48ead
	.long	497580674                       ; 0x1da87a82
	;; [unrolled: 2-line block ×3, first 2 shown]
	.long	980853251                       ; 0x3a76a203
	.long	1531963815                      ; 0x5b4fe9a7
	.long	2259090956                      ; 0x86a6fe0c
	;; [unrolled: 1-line block ×6, first 2 shown]
	.long	30458798                        ; 0x1d0c3ae
	.long	3447807375                      ; 0xcd815d8f
	.long	1090142292                      ; 0x40fa4054
	;; [unrolled: 1-line block ×4, first 2 shown]
	.long	748518306                       ; 0x2c9d7ba2
	.long	2255362927                      ; 0x866e1b6f
	.long	91588630                        ; 0x5758816
	.long	3122782857                      ; 0xba21e289
	.long	929883614                       ; 0x376ce5de
	.long	1016302700                      ; 0x3c938c6c
	.long	4135967848                      ; 0xf685dc68
	;; [unrolled: 1-line block ×7, first 2 shown]
	.long	229752655                       ; 0xdb1bf4f
	.long	1011692880                      ; 0x3c4d3550
	.long	2791828564                      ; 0xa667ec54
	;; [unrolled: 1-line block ×3, first 2 shown]
	.long	397062412                       ; 0x17aab10c
	.long	1754509337                      ; 0x6893b019
	.long	2321492983                      ; 0x8a5f2bf7
	;; [unrolled: 1-line block ×5, first 2 shown]
	.long	434175992                       ; 0x19e0fff8
	.long	3155484007                      ; 0xbc14dd67
	.long	2306406482                      ; 0x8978f852
	.long	1417194283                      ; 0x5478ab2b
	.long	3217107401                      ; 0xbfc129c9
	.long	1521633702                      ; 0x5ab249a6
	.long	2366802562                      ; 0x8d128a82
	.long	399245037                       ; 0x17cbfeed
	.long	665389310                       ; 0x27a908fe
	.long	76017436                        ; 0x487ef1c
	.long	3231711673                      ; 0xc0a001b9
	.long	3784114896                      ; 0xe18d02d0
	;; [unrolled: 1-line block ×3, first 2 shown]
	.long	37004463                        ; 0x234a4af
	.long	2157090897                      ; 0x80929851
	.long	2278711709                      ; 0x87d2619d
	;; [unrolled: 1-line block ×9, first 2 shown]
	.long	836721481                       ; 0x31df5b49
	.long	63853850                        ; 0x3ce551a
	.long	3585779636                      ; 0xd5baa7b4
	.long	81127429                        ; 0x4d5e805
	.long	3549929990                      ; 0xd397a206
	.long	2541553478                      ; 0x977d0746
	.long	1335910186                      ; 0x4fa05f2a
	.long	4169018554                      ; 0xf87e2cba
	.long	1671155                         ; 0x197ff3
	.long	472949658                       ; 0x1c30a39a
	.long	2086411677                      ; 0x7c5c1d9d
	.long	3600963048                      ; 0xd6a255e8
	;; [unrolled: 1-line block ×4, first 2 shown]
	.long	471598090                       ; 0x1c1c040a
	.long	3297781744                      ; 0xc49027f0
	.long	1181513377                      ; 0x466c76a1
	.long	321630853                       ; 0x132bb285
	.long	736452516                       ; 0x2be55fa4
	;; [unrolled: 1-line block ×3, first 2 shown]
	.long	2296508711                      ; 0x88e1f127
	.long	2323956092                      ; 0x8a84c17c
	;; [unrolled: 1-line block ×3, first 2 shown]
	.long	192349301                       ; 0xb770475
	.long	3804215437                      ; 0xe2bfb88d
	.long	314399580                       ; 0x12bd5b5c
	.long	2993842723                      ; 0xb2726a23
	.long	1138131968                      ; 0x43d68400
	;; [unrolled: 1-line block ×4, first 2 shown]
	.long	584746730                       ; 0x22da86ea
	.long	2288945270                      ; 0x886e8876
	.long	2489094664                      ; 0x945c9208
	.long	228734829                       ; 0xda2376d
	.long	577956164                       ; 0x2272e944
	.long	3868048239                      ; 0xe68dbb6f
	.long	1924581773                      ; 0x72b6c98d
	;; [unrolled: 1-line block ×3, first 2 shown]
	.long	112604551                       ; 0x6b63587
	.long	3865074232                      ; 0xe6605a38
	.long	2091950990                      ; 0x7cb0a38e
	;; [unrolled: 1-line block ×3, first 2 shown]
	.long	626049886                       ; 0x2550c35e
	.long	910887552                       ; 0x364b0a80
	.long	4127297396                      ; 0xf6018f74
	.long	2494071916                      ; 0x94a8846c
	.long	547797457                       ; 0x20a6b9d1
	.long	2142891352                      ; 0x7fb9ed58
	.long	1154068086                      ; 0x44c9ae76
	;; [unrolled: 3-line block ×3, first 2 shown]
	.long	3342870442                      ; 0xc74027aa
	.long	80596481                        ; 0x4cdce01
	.long	126970446                       ; 0x7916a4e
	.long	2276453681                      ; 0x87afed31
	.long	824575673                       ; 0x312606b9
	.long	3399719246                      ; 0xcaa3994e
	.long	1087028487                      ; 0x40cabd07
	;; [unrolled: 1-line block ×3, first 2 shown]
	.long	874278393                       ; 0x341c6df9
	.long	740197255                       ; 0x2c1e8387
	.long	14860817                        ; 0xe2c211
	.long	2201723284                      ; 0x833ba194
	.long	3908202640                      ; 0xe8f27090
	;; [unrolled: 1-line block ×4, first 2 shown]
	.long	90540547                        ; 0x5658a03
	.long	2575809693                      ; 0x9987bc9d
	.long	4172462501                      ; 0xf8b2b9a5
	.long	746169572                       ; 0x2c79a4e4
	.long	831222037                       ; 0x318b7115
	.long	56239065                        ; 0x35a23d9
	.long	3575249683                      ; 0xd519fb13
	.long	2939319477                      ; 0xaf3274b5
	;; [unrolled: 1-line block ×4, first 2 shown]
	.long	412461711                       ; 0x1895aa8f
	.long	2992300101                      ; 0xb25ae045
	.long	1513271778                      ; 0x5a32b1e2
	.long	1078781767                      ; 0x404ce747
	.long	969149327                       ; 0x39c40b8f
	.long	3660190396                      ; 0xda2a12bc
	.long	2739211008                      ; 0xa3450b00
	.long	1954453463                      ; 0x747e97d7
	;; [unrolled: 4-line block ×3, first 2 shown]
	.long	2884603001                      ; 0xabef8c79
	.long	2820350438                      ; 0xa81b21e6
	.long	3378471970                      ; 0xc95f6422
	.long	2124229268                      ; 0x7e9d2a94
	.long	1263126330                      ; 0x4b49c73a
	.long	860214490                       ; 0x3345d4da
	.long	793306335                       ; 0x2f48e4df
	;; [unrolled: 1-line block ×3, first 2 shown]
	.long	4086980935                      ; 0xf39a6147
	.long	2902522885                      ; 0xad00fc05
	.long	554804421                       ; 0x2111a4c5
	.long	1472297125                      ; 0x57c178a5
	.long	497580674                       ; 0x1da87a82
	;; [unrolled: 2-line block ×3, first 2 shown]
	.long	980853251                       ; 0x3a76a203
	.long	1628231485                      ; 0x610cd73d
	.long	2259090956                      ; 0x86a6fe0c
	.long	2099629264                      ; 0x7d25ccd0
	.long	2031491001                      ; 0x791617b9
	.long	2205009469                      ; 0x836dc63d
	.long	2562996945                      ; 0x98c43ad1
	.long	30458798                        ; 0x1d0c3ae
	.long	3447807375                      ; 0xcd815d8f
	.long	1090142292                      ; 0x40fa4054
	;; [unrolled: 1-line block ×4, first 2 shown]
	.long	748518306                       ; 0x2c9d7ba2
	.long	2255362927                      ; 0x866e1b6f
	.long	91588630                        ; 0x5758816
	.long	3122782857                      ; 0xba21e289
	.long	435869165                       ; 0x19fad5ed
	.long	1016302700                      ; 0x3c938c6c
	.long	4135967848                      ; 0xf685dc68
	;; [unrolled: 1-line block ×7, first 2 shown]
	.long	229752655                       ; 0xdb1bf4f
	.long	1011692880                      ; 0x3c4d3550
	.long	1150278253                      ; 0x448fda6d
	;; [unrolled: 1-line block ×3, first 2 shown]
	.long	397062412                       ; 0x17aab10c
	.long	1754509337                      ; 0x6893b019
	.long	2321492983                      ; 0x8a5f2bf7
	;; [unrolled: 1-line block ×5, first 2 shown]
	.long	434175992                       ; 0x19e0fff8
	.long	3155484007                      ; 0xbc14dd67
	.long	4169948411                      ; 0xf88c5cfb
	;; [unrolled: 1-line block ×7, first 2 shown]
	.long	665389310                       ; 0x27a908fe
	.long	76017436                        ; 0x487ef1c
	.long	3231711673                      ; 0xc0a001b9
	.long	3784114896                      ; 0xe18d02d0
	;; [unrolled: 1-line block ×3, first 2 shown]
	.long	37004463                        ; 0x234a4af
	.long	2157090897                      ; 0x80929851
	.long	2278711709                      ; 0x87d2619d
	;; [unrolled: 1-line block ×9, first 2 shown]
	.long	836721481                       ; 0x31df5b49
	.long	63853850                        ; 0x3ce551a
	.long	3585779636                      ; 0xd5baa7b4
	.long	81127429                        ; 0x4d5e805
	.long	3850118466                      ; 0xe57c2542
	.long	1883009417                      ; 0x703c7189
	;; [unrolled: 1-line block ×4, first 2 shown]
	.long	529436174                       ; 0x1f8e8e0e
	.long	4182542040                      ; 0xf94c86d8
	.long	2027954186                      ; 0x78e0200a
	;; [unrolled: 1-line block ×6, first 2 shown]
	.long	14764974                        ; 0xe14bae
	.long	2173280370                      ; 0x8189a072
	.long	4148127270                      ; 0xf73f6626
	;; [unrolled: 1-line block ×5, first 2 shown]
	.long	276452076                       ; 0x107a52ec
	.long	192067464                       ; 0xb72b788
	.long	4086351393                      ; 0xf390c621
	.long	37573517                        ; 0x23d538d
	.long	48008720                        ; 0x2dc8e10
	.long	1641547972                      ; 0x61d808c4
	.long	3144774960                      ; 0xbb717530
	.long	2159884108                      ; 0x80bd374c
	.long	4260412239                      ; 0xfdf0bb4f
	.long	4072883650                      ; 0xf2c345c2
	.long	801704944                       ; 0x2fc90bf0
	.long	2475958420                      ; 0x93942094
	.long	2719220408                      ; 0xa21402b8
	.long	555871884                       ; 0x2121ee8c
	.long	3338968445                      ; 0xc7049d7d
	.long	1704817873                      ; 0x659d74d1
	.long	1960791083                      ; 0x74df4c2b
	.long	3785650808                      ; 0xe1a47278
	.long	948722806                       ; 0x388c5c76
	.long	3591229899                      ; 0xd60dd1cb
	.long	1776225011                      ; 0x69df0af3
	;; [unrolled: 5-line block ×3, first 2 shown]
	.long	1970226110                      ; 0x756f43be
	.long	3926325352                      ; 0xea06f868
	.long	770275431                       ; 0x2de97867
	.long	1432667716                      ; 0x5564c644
	.long	671201644                       ; 0x2801b96c
	.long	1008866625                      ; 0x3c221541
	.long	1151827040                      ; 0x44a77c60
	.long	11061406                        ; 0xa8c89e
	.long	3492749345                      ; 0xd02f2021
	.long	2398090284                      ; 0x8eeff42c
	;; [unrolled: 1-line block ×18, first 2 shown]
	.long	643024588                       ; 0x2653c6cc
	.long	1462240654                      ; 0x5728058e
	.long	1877398196                      ; 0x6fe6d2b4
	;; [unrolled: 1-line block ×11, first 2 shown]
	.long	224490427                       ; 0xd6173bb
	.long	1298974897                      ; 0x4d6cc8b1
	.long	4279011954                      ; 0xff0c8a72
	;; [unrolled: 1-line block ×4, first 2 shown]
	.long	285230552                       ; 0x110045d8
	.long	2893090686                      ; 0xac710f7e
	.long	2399312639                      ; 0x8f029aff
	;; [unrolled: 1-line block ×6, first 2 shown]
	.long	867675919                       ; 0x33b7af0f
	.long	3395750357                      ; 0xca6709d5
	.long	1969593211                      ; 0x75659b7b
	;; [unrolled: 1-line block ×7, first 2 shown]
	.long	193598641                       ; 0xb8a14b1
	.long	1267960637                      ; 0x4b938b3d
	.long	1599091894                      ; 0x5f5034b6
	;; [unrolled: 1-line block ×8, first 2 shown]
	.long	797817618                       ; 0x2f8dbb12
	.long	1736047766                      ; 0x6779fc96
	.long	1537439339                      ; 0x5ba3766b
	;; [unrolled: 1-line block ×5, first 2 shown]
	.long	800138109                       ; 0x2fb1237d
	.long	1689425315                      ; 0x64b295a3
	.long	87966703                        ; 0x53e43ef
	.long	3800446188                      ; 0xe28634ec
	.long	137301285                       ; 0x82f0d25
	.long	3334431104                      ; 0xc6bf6180
	.long	1776710491                      ; 0x69e6735b
	;; [unrolled: 1-line block ×5, first 2 shown]
	.long	672158271                       ; 0x2810523f
	.long	3379478560                      ; 0xc96ec020
	.long	2445459713                      ; 0x91c2c101
	.long	918903140                       ; 0x36c55964
	.long	2577376693                      ; 0x999fa5b5
	.long	273150303                       ; 0x1047f15f
	.long	2300393435                      ; 0x891d37db
	.long	3529750006                      ; 0xd263b5f6
	;; [unrolled: 1-line block ×8, first 2 shown]
	.long	959011520                       ; 0x39295ac0
	.long	1477207871                      ; 0x580c673f
	.long	2141548481                      ; 0x7fa56fc1
	.long	2065858781                      ; 0x7b2280dd
	.long	3145892196                      ; 0xbb828164
	.long	3679867589                      ; 0xdb5652c5
	.long	1295127682                      ; 0x4d321482
	.long	1325838381                      ; 0x4f06b02d
	.long	3482593404                      ; 0xcf94287c
	.long	1212565985                      ; 0x484649e1
	.long	3404887017                      ; 0xcaf273e9
	.long	709111097                       ; 0x2a442d39
	.long	1714185234                      ; 0x662c6412
	.long	561489165                       ; 0x2177a50d
	.long	3545430079                      ; 0xd352f83f
	;; [unrolled: 2-line block ×3, first 2 shown]
	.long	2235482356                      ; 0x853ec0f4
	.long	2263913966                      ; 0x86f095ee
	;; [unrolled: 1-line block ×3, first 2 shown]
	.long	170295791                       ; 0xa2681ef
	.long	2753410803                      ; 0xa41db6f3
	.long	2200994594                      ; 0x83308322
	.long	14686027                        ; 0xe0174b
	.long	3460333923                      ; 0xce408163
	.long	1523230564                      ; 0x5acaa764
	.long	393272614                       ; 0x1770dd26
	.long	1632665034                      ; 0x61507dca
	.long	2139771608                      ; 0x7f8a52d8
	;; [unrolled: 1-line block ×3, first 2 shown]
	.long	375335282                       ; 0x165f2972
	.long	667585308                       ; 0x27ca8b1c
	.long	3651645415                      ; 0xd9a7afe7
	.long	1403132103                      ; 0x53a218c7
	.long	4146144245                      ; 0xf72123f5
	.long	786890392                       ; 0x2ee6fe98
	.long	1349234364                      ; 0x506baebc
	.long	1278024517                      ; 0x4c2d1b45
	.long	84921263                        ; 0x50fcbaf
	.long	3758850381                      ; 0xe00b814d
	.long	4213552796                      ; 0xfb25b69c
	.long	2355655048                      ; 0x8c687188
	.long	1636349912                      ; 0x6188b7d8
	.long	172797504                       ; 0xa4cae40
	.long	2490691729                      ; 0x9474f091
	.long	1233059003                      ; 0x497efcbb
	;; [unrolled: 1-line block ×3, first 2 shown]
	.long	942056581                       ; 0x3826a485
	.long	953415060                       ; 0x38d3f594
	.long	4250104075                      ; 0xfd53710b
	.long	787552244                       ; 0x2ef117f4
	.long	1995239637                      ; 0x76ecf0d5
	.long	2482815609                      ; 0x93fcc279
	.long	767530774                       ; 0x2dbf9716
	.long	773778243                       ; 0x2e1eeb43
	;; [unrolled: 1-line block ×3, first 2 shown]
	.long	2718419035                      ; 0xa207c85b
	.long	3363828032                      ; 0xc87ff140
	.long	737774143                       ; 0x2bf98a3f
	.long	4128182656                      ; 0xf60f1180
	.long	2335090807                      ; 0x8b2ea877
	.long	1421795969                      ; 0x54bee281
	.long	2322011430                      ; 0x8a671526
	.long	2808330380                      ; 0xa763b88c
	.long	2207840656                      ; 0x8398f990
	.long	1646731611                      ; 0x6227215b
	.long	492284258                       ; 0x1d57a962
	.long	2339383764                      ; 0x8b7029d4
	.long	3439685708                      ; 0xcd05704c
	.long	2316859204                      ; 0x8a187744
	.long	4055048437                      ; 0xf1b320f5
	.long	1700143892                      ; 0x65562314
	;; [unrolled: 8-line block ×3, first 2 shown]
	.long	3375043688                      ; 0xc92b1468
	.long	3489699354                      ; 0xd000961a
	;; [unrolled: 1-line block ×4, first 2 shown]
	.long	914273272                       ; 0x367eb3f8
	.long	3060460082                      ; 0xb66aea32
	.long	1409014396                      ; 0x53fbda7c
	;; [unrolled: 1-line block ×3, first 2 shown]
	.long	461914731                       ; 0x1b88426b
	.long	82334736                        ; 0x4e85410
	.long	3200344474                      ; 0xbec1619a
	.long	2743316601                      ; 0xa383b079
	.long	842885927                       ; 0x323d6b27
	.long	613943741                       ; 0x249809bd
	.long	96056919                        ; 0x5b9b657
	.long	3116963503                      ; 0xb9c916af
	.long	305659983                       ; 0x1238004f
	.long	132158360                       ; 0x7e09398
	;; [unrolled: 1-line block ×5, first 2 shown]
	.long	4250983939                      ; 0xfd60de03
	.long	2719881954                      ; 0xa21e1ae2
	;; [unrolled: 1-line block ×4, first 2 shown]
	.long	853237881                       ; 0x32db6079
	.long	3875675156                      ; 0xe7021c14
	.long	1753566841                      ; 0x68854e79
	;; [unrolled: 1-line block ×7, first 2 shown]
	.long	383661834                       ; 0x16de370a
	.long	2420221467                      ; 0x9041a61b
	.long	156828838                       ; 0x95904a6
	.long	2919782856                      ; 0xae0859c8
	;; [unrolled: 2-line block ×3, first 2 shown]
	.long	65231340                        ; 0x3e359ec
	.long	1589837081                      ; 0x5ec2fd19
	.long	3654438263                      ; 0xd9d24d77
	.long	467304037                       ; 0x1bda7e65
	.long	1000159563                      ; 0x3b9d394b
	.long	622643461                       ; 0x251cc905
	;; [unrolled: 2-line block ×3, first 2 shown]
	.long	1003597552                      ; 0x3bd1aef0
	.long	1972701846                      ; 0x75950a96
	;; [unrolled: 1-line block ×11, first 2 shown]
	.long	533258319                       ; 0x1fc8e04f
	.long	3323553423                      ; 0xc619668f
	.long	4203909276                      ; 0xfa92909c
	.long	668602384                       ; 0x27da1010
	.long	3979162921                      ; 0xed2d3529
	.long	2360530772                      ; 0x8cb2d754
	.long	162121513                       ; 0x9a9c729
	.long	8968884                         ; 0x88dab4
	.long	3647746035                      ; 0xd96c2ff3
	.long	2830313226                      ; 0xa8b3270a
	;; [unrolled: 1-line block ×3, first 2 shown]
	.long	78142012                        ; 0x4a85a3c
	.long	1643270604                      ; 0x61f251cc
	.long	1571637938                      ; 0x5dad4ab2
	;; [unrolled: 1-line block ×17, first 2 shown]
	.long	839676594                       ; 0x320c72b2
	.long	1785445494                      ; 0x6a6bbc76
	.long	1248107478                      ; 0x4a649bd6
	.long	904240268                       ; 0x35e59c8c
	.long	3484988721                      ; 0xcfb8b531
	.long	2290931247                      ; 0x888cd62f
	;; [unrolled: 1-line block ×6, first 2 shown]
	.long	40877237                        ; 0x26fbcb5
	.long	2914051470                      ; 0xadb0e58e
	.long	2810210896                      ; 0xa7806a50
	;; [unrolled: 1-line block ×3, first 2 shown]
	.long	170295791                       ; 0xa2681ef
	.long	2753410803                      ; 0xa41db6f3
	.long	2200994594                      ; 0x83308322
	.long	14686027                        ; 0xe0174b
	.long	3263438011                      ; 0xc2841cbb
	.long	1523230564                      ; 0x5acaa764
	.long	393272614                       ; 0x1770dd26
	.long	1632665034                      ; 0x61507dca
	.long	2139771608                      ; 0x7f8a52d8
	.long	1847095655                      ; 0x6e187167
	.long	375335282                       ; 0x165f2972
	.long	667585308                       ; 0x27ca8b1c
	.long	3651645415                      ; 0xd9a7afe7
	.long	1403132103                      ; 0x53a218c7
	;; [unrolled: 1-line block ×3, first 2 shown]
	.long	786890392                       ; 0x2ee6fe98
	.long	1349234364                      ; 0x506baebc
	.long	1278024517                      ; 0x4c2d1b45
	.long	84921263                        ; 0x50fcbaf
	.long	317409190                       ; 0x12eb47a6
	.long	4213552796                      ; 0xfb25b69c
	.long	2355655048                      ; 0x8c687188
	;; [unrolled: 1-line block ×3, first 2 shown]
	.long	172797504                       ; 0xa4cae40
	.long	891435579                       ; 0x35223a3b
	.long	1233059003                      ; 0x497efcbb
	.long	2593048824                      ; 0x9a8ec8f8
	.long	942056581                       ; 0x3826a485
	.long	953415060                       ; 0x38d3f594
	.long	1606837225                      ; 0x5fc663e9
	.long	787552244                       ; 0x2ef117f4
	.long	1995239637                      ; 0x76ecf0d5
	.long	2482815609                      ; 0x93fcc279
	.long	767530774                       ; 0x2dbf9716
	.long	723338833                       ; 0x2b1d4651
	;; [unrolled: 1-line block ×3, first 2 shown]
	.long	2718419035                      ; 0xa207c85b
	.long	3363828032                      ; 0xc87ff140
	.long	737774143                       ; 0x2bf98a3f
	.long	1043554448                      ; 0x3e336090
	.long	2335090807                      ; 0x8b2ea877
	;; [unrolled: 1-line block ×7, first 2 shown]
	.long	492284258                       ; 0x1d57a962
	.long	2339383764                      ; 0x8b7029d4
	.long	3439685708                      ; 0xcd05704c
	.long	3985616488                      ; 0xed8fae68
	.long	4055048437                      ; 0xf1b320f5
	.long	1700143892                      ; 0x65562314
	.long	2980557654                      ; 0xb1a7b356
	.long	1353917552                      ; 0x50b32470
	.long	588678041                       ; 0x23168399
	.long	1077538998                      ; 0x4039f0b6
	.long	2650679367                      ; 0x9dfe2847
	;; [unrolled: 1-line block ×4, first 2 shown]
	.long	992549416                       ; 0x3b291a28
	.long	3375043688                      ; 0xc92b1468
	.long	3489699354                      ; 0xd000961a
	;; [unrolled: 1-line block ×8, first 2 shown]
	.long	461914731                       ; 0x1b88426b
	.long	749987143                       ; 0x2cb3e547
	.long	3200344474                      ; 0xbec1619a
	.long	2743316601                      ; 0xa383b079
	.long	842885927                       ; 0x323d6b27
	.long	613943741                       ; 0x249809bd
	.long	1572013294                      ; 0x5db304ee
	.long	3116963503                      ; 0xb9c916af
	.long	305659983                       ; 0x1238004f
	.long	132158360                       ; 0x7e09398
	;; [unrolled: 1-line block ×3, first 2 shown]
	.long	2802105766                      ; 0xa704bda6
	.long	543215927                       ; 0x2060d137
	.long	4250983939                      ; 0xfd60de03
	.long	2719881954                      ; 0xa21e1ae2
	;; [unrolled: 1-line block ×4, first 2 shown]
	.long	853237881                       ; 0x32db6079
	.long	3875675156                      ; 0xe7021c14
	.long	1753566841                      ; 0x68854e79
	;; [unrolled: 1-line block ×7, first 2 shown]
	.long	383661834                       ; 0x16de370a
	.long	1291267638                      ; 0x4cf72e36
	.long	156828838                       ; 0x95904a6
	.long	2919782856                      ; 0xae0859c8
	;; [unrolled: 2-line block ×3, first 2 shown]
	.long	2108151330                      ; 0x7da7d622
	.long	1589837081                      ; 0x5ec2fd19
	;; [unrolled: 1-line block ×3, first 2 shown]
	.long	467304037                       ; 0x1bda7e65
	.long	1000159563                      ; 0x3b9d394b
	.long	611554173                       ; 0x2473937d
	.long	1410713407                      ; 0x5415c73f
	;; [unrolled: 2-line block ×3, first 2 shown]
	.long	1972701846                      ; 0x75950a96
	.long	1548061756                      ; 0x5c458c3c
	;; [unrolled: 1-line block ×10, first 2 shown]
	.long	533258319                       ; 0x1fc8e04f
	.long	4213499273                      ; 0xfb24e589
	.long	4203909276                      ; 0xfa92909c
	.long	668602384                       ; 0x27da1010
	.long	3979162921                      ; 0xed2d3529
	.long	2360530772                      ; 0x8cb2d754
	.long	197252548                       ; 0xbc1d5c4
	.long	8968884                         ; 0x88dab4
	.long	3647746035                      ; 0xd96c2ff3
	.long	2830313226                      ; 0xa8b3270a
	;; [unrolled: 1-line block ×3, first 2 shown]
	.long	791687787                       ; 0x2f30326b
	.long	1643270604                      ; 0x61f251cc
	.long	1571637938                      ; 0x5dad4ab2
	;; [unrolled: 1-line block ×17, first 2 shown]
	.long	839676594                       ; 0x320c72b2
	.long	1785445494                      ; 0x6a6bbc76
	.long	935893161                       ; 0x37c898a9
	.long	904240268                       ; 0x35e59c8c
	.long	3484988721                      ; 0xcfb8b531
	.long	2290931247                      ; 0x888cd62f
	;; [unrolled: 1-line block ×6, first 2 shown]
	.long	40877237                        ; 0x26fbcb5
	.long	2914051470                      ; 0xadb0e58e
	.long	1936503212                      ; 0x736cb1ac
	;; [unrolled: 1-line block ×3, first 2 shown]
	.long	170295791                       ; 0xa2681ef
	.long	2753410803                      ; 0xa41db6f3
	.long	2200994594                      ; 0x83308322
	;; [unrolled: 1-line block ×5, first 2 shown]
	.long	393272614                       ; 0x1770dd26
	.long	1632665034                      ; 0x61507dca
	.long	3223475136                      ; 0xc02253c0
	;; [unrolled: 1-line block ×3, first 2 shown]
	.long	375335282                       ; 0x165f2972
	.long	667585308                       ; 0x27ca8b1c
	.long	3651645415                      ; 0xd9a7afe7
	.long	1628711405                      ; 0x611429ed
	.long	1888152231                      ; 0x708aeaa7
	.long	786890392                       ; 0x2ee6fe98
	.long	1349234364                      ; 0x506baebc
	.long	1278024517                      ; 0x4c2d1b45
	.long	3955811679                      ; 0xebc8e55f
	;; [unrolled: 4-line block ×3, first 2 shown]
	.long	2875036620                      ; 0xab5d93cc
	.long	891435579                       ; 0x35223a3b
	.long	1233059003                      ; 0x497efcbb
	.long	2593048824                      ; 0x9a8ec8f8
	.long	942056581                       ; 0x3826a485
	.long	2852399035                      ; 0xaa0427bb
	;; [unrolled: 3-line block ×3, first 2 shown]
	.long	2482815609                      ; 0x93fcc279
	.long	3849697041                      ; 0xe575b711
	.long	723338833                       ; 0x2b1d4651
	.long	841396894                       ; 0x3226b29e
	.long	2718419035                      ; 0xa207c85b
	.long	3363828032                      ; 0xc87ff140
	;; [unrolled: 1-line block ×10, first 2 shown]
	.long	492284258                       ; 0x1d57a962
	.long	2339383764                      ; 0x8b7029d4
	.long	2345741058                      ; 0x8bd12b02
	;; [unrolled: 1-line block ×7, first 2 shown]
	.long	588678041                       ; 0x23168399
	.long	1077538998                      ; 0x4039f0b6
	.long	2650679367                      ; 0x9dfe2847
	;; [unrolled: 1-line block ×4, first 2 shown]
	.long	992549416                       ; 0x3b291a28
	.long	3375043688                      ; 0xc92b1468
	.long	3489699354                      ; 0xd000961a
	;; [unrolled: 1-line block ×9, first 2 shown]
	.long	749987143                       ; 0x2cb3e547
	.long	3200344474                      ; 0xbec1619a
	.long	2743316601                      ; 0xa383b079
	.long	842885927                       ; 0x323d6b27
	.long	3902266797                      ; 0xe897ddad
	.long	1572013294                      ; 0x5db304ee
	;; [unrolled: 1-line block ×3, first 2 shown]
	.long	305659983                       ; 0x1238004f
	.long	132158360                       ; 0x7e09398
	.long	2399116869                      ; 0x8eff9e45
	.long	2802105766                      ; 0xa704bda6
	.long	543215927                       ; 0x2060d137
	.long	4250983939                      ; 0xfd60de03
	.long	2719881954                      ; 0xa21e1ae2
	;; [unrolled: 1-line block ×4, first 2 shown]
	.long	853237881                       ; 0x32db6079
	.long	3875675156                      ; 0xe7021c14
	.long	1753566841                      ; 0x68854e79
	.long	315928539                       ; 0x12d4afdb
	.long	2265992307                      ; 0x87104c73
	.long	2155720472                      ; 0x807daf18
	.long	1902508987                      ; 0x7165fbbb
	.long	4246118829                      ; 0xfd16a1ad
	.long	4054781820                      ; 0xf1af0f7c
	.long	1291267638                      ; 0x4cf72e36
	.long	156828838                       ; 0x95904a6
	.long	2919782856                      ; 0xae0859c8
	.long	499968148                       ; 0x1dcce894
	.long	2746436642                      ; 0xa3b34c22
	.long	2108151330                      ; 0x7da7d622
	;; [unrolled: 1-line block ×4, first 2 shown]
	.long	467304037                       ; 0x1bda7e65
	.long	2376244866                      ; 0x8da29e82
	.long	611554173                       ; 0x2473937d
	.long	1410713407                      ; 0x5415c73f
	;; [unrolled: 2-line block ×4, first 2 shown]
	.long	1934888620                      ; 0x73540eac
	.long	4214562113                      ; 0xfb351d41
	;; [unrolled: 1-line block ×11, first 2 shown]
	.long	668602384                       ; 0x27da1010
	.long	3979162921                      ; 0xed2d3529
	.long	4241359084                      ; 0xfcce00ec
	.long	197252548                       ; 0xbc1d5c4
	.long	8968884                         ; 0x88dab4
	.long	3647746035                      ; 0xd96c2ff3
	.long	2830313226                      ; 0xa8b3270a
	;; [unrolled: 1-line block ×3, first 2 shown]
	.long	791687787                       ; 0x2f30326b
	.long	1643270604                      ; 0x61f251cc
	.long	1571637938                      ; 0x5dad4ab2
	;; [unrolled: 1-line block ×3, first 2 shown]
	.long	961587641                       ; 0x3950a9b9
	.long	2026290282                      ; 0x78c6bc6a
	.long	3826814783                      ; 0xe4188f3f
	;; [unrolled: 1-line block ×13, first 2 shown]
	.long	839676594                       ; 0x320c72b2
	.long	4017546432                      ; 0xef76e4c0
	.long	935893161                       ; 0x37c898a9
	.long	904240268                       ; 0x35e59c8c
	.long	3484988721                      ; 0xcfb8b531
	.long	2290931247                      ; 0x888cd62f
	.long	2887434676                      ; 0xac1ac1b4
	.long	1497667362                      ; 0x59449722
	.long	1494555863                      ; 0x59151cd7
	.long	3251796061                      ; 0xc1d2785d
	.long	40877237                        ; 0x26fbcb5
	.long	675451622                       ; 0x284292e6
	.long	1936503212                      ; 0x736cb1ac
	.long	1428826975                      ; 0x552a2b5f
	.long	170295791                       ; 0xa2681ef
	.long	2753410803                      ; 0xa41db6f3
	.long	13691728                        ; 0xd0eb50
	.long	3416506072                      ; 0xcba3bed8
	.long	3263438011                      ; 0xc2841cbb
	;; [unrolled: 1-line block ×3, first 2 shown]
	.long	393272614                       ; 0x1770dd26
	.long	2875584734                      ; 0xab65f0de
	.long	3223475136                      ; 0xc02253c0
	;; [unrolled: 1-line block ×3, first 2 shown]
	.long	375335282                       ; 0x165f2972
	.long	667585308                       ; 0x27ca8b1c
	;; [unrolled: 1-line block ×3, first 2 shown]
	.long	1628711405                      ; 0x611429ed
	.long	1888152231                      ; 0x708aeaa7
	.long	786890392                       ; 0x2ee6fe98
	.long	1349234364                      ; 0x506baebc
	.long	511851370                       ; 0x1e823b6a
	;; [unrolled: 2-line block ×3, first 2 shown]
	.long	4213552796                      ; 0xfb25b69c
	.long	2355655048                      ; 0x8c687188
	.long	131052067                       ; 0x7cfb223
	.long	2875036620                      ; 0xab5d93cc
	.long	891435579                       ; 0x35223a3b
	.long	1233059003                      ; 0x497efcbb
	.long	2593048824                      ; 0x9a8ec8f8
	.long	2915307792                      ; 0xadc41110
	.long	2852399035                      ; 0xaa0427bb
	.long	1606837225                      ; 0x5fc663e9
	.long	787552244                       ; 0x2ef117f4
	.long	1995239637                      ; 0x76ecf0d5
	.long	886016481                       ; 0x34cf89e1
	.long	3849697041                      ; 0xe575b711
	.long	723338833                       ; 0x2b1d4651
	.long	841396894                       ; 0x3226b29e
	.long	2718419035                      ; 0xa207c85b
	.long	1765948302                      ; 0x69423b8e
	;; [unrolled: 1-line block ×10, first 2 shown]
	.long	492284258                       ; 0x1d57a962
	.long	1723935335                      ; 0x66c12a67
	.long	2345741058                      ; 0x8bd12b02
	;; [unrolled: 1-line block ×7, first 2 shown]
	.long	588678041                       ; 0x23168399
	.long	1077538998                      ; 0x4039f0b6
	.long	2650679367                      ; 0x9dfe2847
	;; [unrolled: 1-line block ×4, first 2 shown]
	.long	992549416                       ; 0x3b291a28
	.long	3375043688                      ; 0xc92b1468
	.long	3489699354                      ; 0xd000961a
	;; [unrolled: 1-line block ×9, first 2 shown]
	.long	749987143                       ; 0x2cb3e547
	.long	3200344474                      ; 0xbec1619a
	.long	2743316601                      ; 0xa383b079
	.long	398855857                       ; 0x17c60eb1
	.long	3902266797                      ; 0xe897ddad
	.long	1572013294                      ; 0x5db304ee
	.long	3116963503                      ; 0xb9c916af
	.long	305659983                       ; 0x1238004f
	.long	1626072332                      ; 0x60ebe50c
	.long	2399116869                      ; 0x8eff9e45
	.long	2802105766                      ; 0xa704bda6
	.long	543215927                       ; 0x2060d137
	.long	4250983939                      ; 0xfd60de03
	.long	1149058742                      ; 0x447d3eb6
	.long	1909593430                      ; 0x71d21556
	;; [unrolled: 1-line block ×3, first 2 shown]
	.long	853237881                       ; 0x32db6079
	.long	3875675156                      ; 0xe7021c14
	.long	2709854504                      ; 0xa1851928
	.long	315928539                       ; 0x12d4afdb
	.long	2265992307                      ; 0x87104c73
	.long	2155720472                      ; 0x807daf18
	;; [unrolled: 1-line block ×6, first 2 shown]
	.long	156828838                       ; 0x95904a6
	.long	2919782856                      ; 0xae0859c8
	.long	1004764391                      ; 0x3be37ce7
	;; [unrolled: 1-line block ×8, first 2 shown]
	.long	611554173                       ; 0x2473937d
	.long	1410713407                      ; 0x5415c73f
	.long	491953742                       ; 0x1d529e4e
	.long	3149407591                      ; 0xbbb82567
	;; [unrolled: 2-line block ×3, first 2 shown]
	.long	1934888620                      ; 0x73540eac
	.long	4214562113                      ; 0xfb351d41
	;; [unrolled: 1-line block ×11, first 2 shown]
	.long	668602384                       ; 0x27da1010
	.long	2188341510                      ; 0x826f7106
	.long	4241359084                      ; 0xfcce00ec
	.long	197252548                       ; 0xbc1d5c4
	.long	8968884                         ; 0x88dab4
	.long	3647746035                      ; 0xd96c2ff3
	.long	629654524                       ; 0x2587c3fc
	.long	2057817762                      ; 0x7aa7cea2
	.long	791687787                       ; 0x2f30326b
	.long	1643270604                      ; 0x61f251cc
	.long	1571637938                      ; 0x5dad4ab2
	;; [unrolled: 1-line block ×3, first 2 shown]
	.long	961587641                       ; 0x3950a9b9
	.long	2026290282                      ; 0x78c6bc6a
	.long	3826814783                      ; 0xe4188f3f
	;; [unrolled: 1-line block ×15, first 2 shown]
	.long	935893161                       ; 0x37c898a9
	.long	904240268                       ; 0x35e59c8c
	.long	3484988721                      ; 0xcfb8b531
	.long	2448752416                      ; 0x91f4ff20
	;; [unrolled: 1-line block ×9, first 2 shown]
	.long	59242551                        ; 0x387f837
	.long	487334743                       ; 0x1d0c2357
	.long	2580513180                      ; 0x99cf819c
	.long	3704829028                      ; 0xdcd33464
	;; [unrolled: 1-line block ×4, first 2 shown]
	.long	783668920                       ; 0x2eb5d6b8
	.long	2394905786                      ; 0x8ebf5cba
	.long	3179497902                      ; 0xbd8349ae
	;; [unrolled: 1-line block ×5, first 2 shown]
	.long	224944469                       ; 0xd686155
	.long	3876873579                      ; 0xe714656b
	.long	3402518289                      ; 0xcace4f11
	;; [unrolled: 1-line block ×7, first 2 shown]
	.long	346905231                       ; 0x14ad5a8f
	.long	590629983                       ; 0x23344c5f
	.long	1171021480                      ; 0x45cc5ea8
	.long	4051081465                      ; 0xf17698f9
	;; [unrolled: 1-line block ×8, first 2 shown]
	.long	899722025                       ; 0x35a0ab29
	.long	661756192                       ; 0x27719920
	.long	3775551864                      ; 0xe10a5978
	.long	1288569751                      ; 0x4cce0397
	;; [unrolled: 1-line block ×23, first 2 shown]
	.long	470206543                       ; 0x1c06c84f
	.long	1097339633                      ; 0x416812f1
	.long	1714430226                      ; 0x66302112
	.long	2321268672                      ; 0x8a5bbfc0
	.long	1149373331                      ; 0x44820b93
	.long	294569671                       ; 0x118ec6c7
	.long	4264586290                      ; 0xfe306c32
	.long	4270574127                      ; 0xfe8bca2f
	;; [unrolled: 1-line block ×3, first 2 shown]
	.long	230975563                       ; 0xdc4684b
	.long	131504269                       ; 0x7d6988d
	;; [unrolled: 1-line block ×3, first 2 shown]
	.long	1380704847                      ; 0x524be24f
	.long	2946408074                      ; 0xaf9e9e8a
	.long	282744860                       ; 0x10da581c
	.long	246858261                       ; 0xeb6c215
	.long	2037373985                      ; 0x796fdc21
	.long	1769191691                      ; 0x6973b90b
	;; [unrolled: 1-line block ×4, first 2 shown]
	.long	492251656                       ; 0x1d572a08
	.long	1252290304                      ; 0x4aa46f00
	.long	3616248100                      ; 0xd78b9124
	;; [unrolled: 1-line block ×4, first 2 shown]
	.long	647347869                       ; 0x2695be9d
	.long	3015847616                      ; 0xb3c22ec0
	.long	299045987                       ; 0x11d31463
	.long	866593289                       ; 0x33a72a09
	.long	2009367463                      ; 0x77c483a7
	.long	2448831631                      ; 0x91f6348f
	.long	337965200                       ; 0x1424f090
	.long	1210654808                      ; 0x48292058
	.long	1694878225                      ; 0x6505ca11
	;; [unrolled: 3-line block ×3, first 2 shown]
	.long	4279525028                      ; 0xff145ea4
	.long	338822858                       ; 0x143206ca
	.long	1038097567                      ; 0x3de01c9f
	.long	3996799911                      ; 0xee3a53a7
	.long	755960212                       ; 0x2d0f0994
	.long	149304151                       ; 0x8e63357
	.long	1599868486                      ; 0x5f5c0e46
	.long	4021605447                      ; 0xefb4d447
	;; [unrolled: 1-line block ×5, first 2 shown]
	.long	900840696                       ; 0x35b1bcf8
	.long	3675688669                      ; 0xdb168edd
	.long	3070862438                      ; 0xb709a466
	;; [unrolled: 1-line block ×8, first 2 shown]
	.long	427023787                       ; 0x1973ddab
	.long	3632076073                      ; 0xd87d1529
	.long	2670551310                      ; 0x9f2d610e
	;; [unrolled: 1-line block ×5, first 2 shown]
	.long	324769315                       ; 0x135b9623
	.long	656687887                       ; 0x2724430f
	;; [unrolled: 1-line block ×3, first 2 shown]
	.long	3106428593                      ; 0xb92856b1
	.long	3730407212                      ; 0xde597f2c
	;; [unrolled: 1-line block ×5, first 2 shown]
	.long	664352483                       ; 0x279936e3
	.long	1914686594                      ; 0x721fcc82
	.long	9439399                         ; 0x9008a7
	.long	2548190484                      ; 0x97e24d14
	.long	3127972014                      ; 0xba7110ae
	;; [unrolled: 1-line block ×8, first 2 shown]
	.long	241880428                       ; 0xe6acd6c
	.long	2330159770                      ; 0x8ae36a9a
	.long	3490494273                      ; 0xd00cb741
	;; [unrolled: 1-line block ×3, first 2 shown]
	.long	747522461                       ; 0x2c8e499d
	.long	1060348557                      ; 0x3f33a28d
	.long	3618051469                      ; 0xd7a7158d
	.long	991193538                       ; 0x3b1469c2
	.long	1604905367                      ; 0x5fa8e997
	.long	2595102954                      ; 0x9aae20ea
	;; [unrolled: 1-line block ×4, first 2 shown]
	.long	44265425                        ; 0x2a36fd1
	.long	896268152                       ; 0x356bf778
	.long	9333748                         ; 0x8e6bf4
	.long	2850675977                      ; 0xa9e9dd09
	.long	941433385                       ; 0x381d2229
	.long	2483544989                      ; 0x9407e39d
	.long	3443750079                      ; 0xcd4374bf
	.long	2488690792                      ; 0x94566868
	.long	824297644                       ; 0x3121c8ac
	.long	239464654                       ; 0xe45f0ce
	.long	4133652405                      ; 0xf66287b5
	.long	1611614045                      ; 0x600f475d
	.long	102133367                       ; 0x6166e77
	.long	1780659362                      ; 0x6a22b4a2
	.long	114934718                       ; 0x6d9c3be
	.long	3793050817                      ; 0xe2155cc1
	.long	3286619856                      ; 0xc3e5d6d0
	;; [unrolled: 1-line block ×4, first 2 shown]
	.long	468742651                       ; 0x1bf071fb
	.long	271433491                       ; 0x102dbf13
	.long	3474195023                      ; 0xcf14024f
	.long	479173886                       ; 0x1c8f9cfe
	.long	3282693508                      ; 0xc3a9ed84
	;; [unrolled: 2-line block ×3, first 2 shown]
	.long	3664994445                      ; 0xda73608d
	.long	1943608646                      ; 0x73d91d46
	;; [unrolled: 1-line block ×10, first 2 shown]
	.long	844797255                       ; 0x325a9547
	.long	3881048480                      ; 0xe75419a0
	.long	509186599                       ; 0x1e599227
	.long	1399427071                      ; 0x53698fff
	.long	3815270778                      ; 0xe368697a
	;; [unrolled: 1-line block ×12, first 2 shown]
	.long	849372289                       ; 0x32a06481
	.long	2382885729                      ; 0x8e07f361
	.long	3071102985                      ; 0xb70d5009
	;; [unrolled: 1-line block ×4, first 2 shown]
	.long	847830757                       ; 0x3288dee5
	.long	1414310383                      ; 0x544ca9ef
	.long	3679389549                      ; 0xdb4f076d
	;; [unrolled: 1-line block ×4, first 2 shown]
	.long	339810803                       ; 0x144119f3
	.long	1051648907                      ; 0x3eaee38b
	.long	76928699                        ; 0x495d6bb
	.long	3174194320                      ; 0xbd325c90
	.long	3920525151                      ; 0xe9ae775f
	;; [unrolled: 1-line block ×9, first 2 shown]
	.long	159833659                       ; 0x986de3b
	.long	3406940095                      ; 0xcb11c7bf
	.long	1041601178                      ; 0x3e15929a
	;; [unrolled: 1-line block ×7, first 2 shown]
	.long	530862749                       ; 0x1fa4529d
	.long	3797637507                      ; 0xe25b5983
	.long	2550923758                      ; 0x980c01ee
	;; [unrolled: 1-line block ×3, first 2 shown]
	.long	21682904                        ; 0x14adad8
	.long	936804838                       ; 0x37d681e6
	.long	3832989199                      ; 0xe476c60f
	.long	3063256293                      ; 0xb69594e5
	;; [unrolled: 1-line block ×3, first 2 shown]
	.long	986539283                       ; 0x3acd6513
	.long	3775232150                      ; 0xe1057896
	.long	2867283706                      ; 0xaae746fa
	.long	747477232                       ; 0x2c8d98f0
	.long	946349345                       ; 0x38682521
	.long	1010022077                      ; 0x3c33b6bd
	.long	188204104                       ; 0xb37c448
	.long	2526787171                      ; 0x969bb663
	.long	2816843760                      ; 0xa7e59ff0
	;; [unrolled: 1-line block ×8, first 2 shown]
	.long	645032560                       ; 0x26726a70
	.long	3122679267                      ; 0xba204de3
	.long	3311719932                      ; 0xc564d5fc
	;; [unrolled: 1-line block ×5, first 2 shown]
	.long	387981241                       ; 0x17201fb9
	.long	1714916540                      ; 0x66378cbc
	.long	411019237                       ; 0x187fa7e5
	.long	2248466094                      ; 0x8604deae
	.long	2878213113                      ; 0xab8e0bf9
	;; [unrolled: 1-line block ×24, first 2 shown]
	.long	970464748                       ; 0x39d81dec
	.long	2970978888                      ; 0xb1158a48
	.long	1376163015                      ; 0x520694c7
	;; [unrolled: 1-line block ×4, first 2 shown]
	.long	707915046                       ; 0x2a31ed26
	.long	4262557484                      ; 0xfe11772c
	.long	3237019195                      ; 0xc0f0fe3b
	.long	744279211                       ; 0x2c5cccab
	.long	364567144                       ; 0x15bada68
	.long	1997174860                      ; 0x770a784c
	.long	3215512870                      ; 0xbfa8d526
	;; [unrolled: 1-line block ×11, first 2 shown]
	.long	299239527                       ; 0x11d60867
	.long	874620372                       ; 0x3421a5d4
	.long	2995368704                      ; 0xb289b300
	.long	3219627293                      ; 0xbfe79d1d
	;; [unrolled: 1-line block ×5, first 2 shown]
	.long	37446335                        ; 0x23b62bf
	.long	1619184385                      ; 0x6082cb01
	.long	675901368                       ; 0x28496fb8
	.long	824297644                       ; 0x3121c8ac
	;; [unrolled: 1-line block ×3, first 2 shown]
	.long	4133652405                      ; 0xf66287b5
	.long	1611614045                      ; 0x600f475d
	;; [unrolled: 1-line block ×4, first 2 shown]
	.long	114934718                       ; 0x6d9c3be
	.long	3793050817                      ; 0xe2155cc1
	.long	3286619856                      ; 0xc3e5d6d0
	;; [unrolled: 1-line block ×4, first 2 shown]
	.long	468742651                       ; 0x1bf071fb
	.long	271433491                       ; 0x102dbf13
	.long	3474195023                      ; 0xcf14024f
	.long	77797025                        ; 0x4a316a1
	.long	3282693508                      ; 0xc3a9ed84
	.long	978269731                       ; 0x3a4f3623
	.long	1826990521                      ; 0x6ce5a9b9
	.long	3664994445                      ; 0xda73608d
	;; [unrolled: 1-line block ×11, first 2 shown]
	.long	844797255                       ; 0x325a9547
	.long	4125413817                      ; 0xf5e4d1b9
	.long	509186599                       ; 0x1e599227
	.long	1399427071                      ; 0x53698fff
	.long	3815270778                      ; 0xe368697a
	;; [unrolled: 1-line block ×3, first 2 shown]
	.long	891823593                       ; 0x352825e9
	.long	2990167853                      ; 0xb23a572d
	.long	3716581225                      ; 0xdd868769
	;; [unrolled: 1-line block ×8, first 2 shown]
	.long	849372289                       ; 0x32a06481
	.long	4211525266                      ; 0xfb06c692
	.long	3071102985                      ; 0xb70d5009
	;; [unrolled: 1-line block ×4, first 2 shown]
	.long	847830757                       ; 0x3288dee5
	.long	774013898                       ; 0x2e2283ca
	.long	3679389549                      ; 0xdb4f076d
	.long	1558413907                      ; 0x5ce38253
	;; [unrolled: 1-line block ×3, first 2 shown]
	.long	339810803                       ; 0x144119f3
	.long	2282783575                      ; 0x88108357
	.long	76928699                        ; 0x495d6bb
	.long	3174194320                      ; 0xbd325c90
	.long	3920525151                      ; 0xe9ae775f
	;; [unrolled: 1-line block ×8, first 2 shown]
	.long	676262036                       ; 0x284ef094
	.long	159833659                       ; 0x986de3b
	.long	3406940095                      ; 0xcb11c7bf
	.long	1041601178                      ; 0x3e15929a
	;; [unrolled: 1-line block ×7, first 2 shown]
	.long	530862749                       ; 0x1fa4529d
	.long	3081565689                      ; 0xb7acf5f9
	.long	2550923758                      ; 0x980c01ee
	;; [unrolled: 1-line block ×3, first 2 shown]
	.long	21682904                        ; 0x14adad8
	.long	936804838                       ; 0x37d681e6
	.long	951873872                       ; 0x38bc7150
	.long	3063256293                      ; 0xb69594e5
	.long	3991708711                      ; 0xedeca427
	.long	986539283                       ; 0x3acd6513
	.long	3775232150                      ; 0xe1057896
	.long	487381835                       ; 0x1d0cdb4b
	.long	747477232                       ; 0x2c8d98f0
	;; [unrolled: 1-line block ×3, first 2 shown]
	.long	1010022077                      ; 0x3c33b6bd
	.long	188204104                       ; 0xb37c448
	.long	2898848241                      ; 0xacc8e9f1
	.long	2816843760                      ; 0xa7e59ff0
	.long	1776005940                      ; 0x69dbb334
	.long	2819738500                      ; 0xa811cb84
	.long	1155856699                      ; 0x44e4f93b
	.long	2432683643                      ; 0x90ffce7b
	.long	3802193350                      ; 0xe2a0ddc6
	.long	1163036922                      ; 0x455288fa
	.long	645032560                       ; 0x26726a70
	.long	3122679267                      ; 0xba204de3
	.long	22749078                        ; 0x15b1f96
	.long	3757073707                      ; 0xdff0652b
	.long	2464258247                      ; 0x92e198c7
	;; [unrolled: 1-line block ×3, first 2 shown]
	.long	387981241                       ; 0x17201fb9
	.long	3652130062                      ; 0xd9af150e
	.long	411019237                       ; 0x187fa7e5
	.long	2248466094                      ; 0x8604deae
	.long	2878213113                      ; 0xab8e0bf9
	.long	2742600760                      ; 0xa378c438
	.long	811608089                       ; 0x30602819
	.long	2526526309                      ; 0x9697bb65
	.long	1093836264                      ; 0x41329de8
	.long	3819986000                      ; 0xe3b05c50
	.long	3754388150                      ; 0xdfc76ab6
	.long	415809552                       ; 0x18c8c010
	.long	1441137152                      ; 0x55e60200
	;; [unrolled: 5-line block ×3, first 2 shown]
	.long	2439159233                      ; 0x91629dc1
	.long	1623373213                      ; 0x60c2b59d
	;; [unrolled: 1-line block ×8, first 2 shown]
	.long	718806958                       ; 0x2ad81fae
	.long	970464748                       ; 0x39d81dec
	.long	2970978888                      ; 0xb1158a48
	.long	1376163015                      ; 0x520694c7
	.long	1218588624                      ; 0x48a22fd0
	.long	2307367700                      ; 0x8987a314
	.long	707915046                       ; 0x2a31ed26
	.long	4262557484                      ; 0xfe11772c
	.long	3237019195                      ; 0xc0f0fe3b
	.long	744279211                       ; 0x2c5cccab
	.long	1876395939                      ; 0x6fd787a3
	.long	1997174860                      ; 0x770a784c
	;; [unrolled: 1-line block ×12, first 2 shown]
	.long	299239527                       ; 0x11d60867
	.long	874620372                       ; 0x3421a5d4
	.long	2995368704                      ; 0xb289b300
	.long	872126519                       ; 0x33fb9837
	.long	2431393692                      ; 0x90ec1f9c
	.long	3470601754                      ; 0xcedd2e1a
	.long	1809177571                      ; 0x6bd5dbe3
	.long	37446335                        ; 0x23b62bf
	.long	2365355125                      ; 0x8cfc7475
	.long	675901368                       ; 0x28496fb8
	.long	824297644                       ; 0x3121c8ac
	;; [unrolled: 1-line block ×3, first 2 shown]
	.long	4133652405                      ; 0xf66287b5
	.long	8139161                         ; 0x7c3199
	.long	1918718045                      ; 0x725d505d
	.long	1780659362                      ; 0x6a22b4a2
	.long	114934718                       ; 0x6d9c3be
	.long	3793050817                      ; 0xe2155cc1
	.long	2424418256                      ; 0x9081afd0
	;; [unrolled: 1-line block ×4, first 2 shown]
	.long	468742651                       ; 0x1bf071fb
	.long	271433491                       ; 0x102dbf13
	;; [unrolled: 1-line block ×3, first 2 shown]
	.long	77797025                        ; 0x4a316a1
	.long	3282693508                      ; 0xc3a9ed84
	.long	978269731                       ; 0x3a4f3623
	.long	1826990521                      ; 0x6ce5a9b9
	.long	2963435579                      ; 0xb0a2703b
	;; [unrolled: 1-line block ×13, first 2 shown]
	.long	509186599                       ; 0x1e599227
	.long	1399427071                      ; 0x53698fff
	.long	3815270778                      ; 0xe368697a
	;; [unrolled: 1-line block ×3, first 2 shown]
	.long	891823593                       ; 0x352825e9
	.long	2990167853                      ; 0xb23a572d
	.long	3716581225                      ; 0xdd868769
	;; [unrolled: 1-line block ×14, first 2 shown]
	.long	774013898                       ; 0x2e2283ca
	.long	3679389549                      ; 0xdb4f076d
	.long	1558413907                      ; 0x5ce38253
	;; [unrolled: 1-line block ×3, first 2 shown]
	.long	56072605                        ; 0x357999d
	.long	2282783575                      ; 0x88108357
	.long	76928699                        ; 0x495d6bb
	.long	3174194320                      ; 0xbd325c90
	.long	3920525151                      ; 0xe9ae775f
	.long	268031035                       ; 0xff9d43b
	.long	3894905215                      ; 0xe827897f
	.long	3537133983                      ; 0xd2d4619f
	.long	1701410561                      ; 0x65697701
	.long	3036563175                      ; 0xb4fe46e7
	.long	366935627                       ; 0x15defe4b
	.long	676262036                       ; 0x284ef094
	;; [unrolled: 1-line block ×3, first 2 shown]
	.long	3406940095                      ; 0xcb11c7bf
	.long	1041601178                      ; 0x3e15929a
	;; [unrolled: 1-line block ×11, first 2 shown]
	.long	21682904                        ; 0x14adad8
	.long	604517910                       ; 0x24083616
	.long	951873872                       ; 0x38bc7150
	.long	3063256293                      ; 0xb69594e5
	.long	3991708711                      ; 0xedeca427
	.long	986539283                       ; 0x3acd6513
	.long	2414780630                      ; 0x8feea0d6
	.long	487381835                       ; 0x1d0cdb4b
	.long	747477232                       ; 0x2c8d98f0
	;; [unrolled: 1-line block ×3, first 2 shown]
	.long	1010022077                      ; 0x3c33b6bd
	.long	3820353604                      ; 0xe3b5f844
	;; [unrolled: 1-line block ×10, first 2 shown]
	.long	645032560                       ; 0x26726a70
	.long	4050277201                      ; 0xf16a5351
	.long	22749078                        ; 0x15b1f96
	.long	3757073707                      ; 0xdff0652b
	.long	2464258247                      ; 0x92e198c7
	;; [unrolled: 1-line block ×5, first 2 shown]
	.long	411019237                       ; 0x187fa7e5
	.long	2248466094                      ; 0x8604deae
	.long	2878213113                      ; 0xab8e0bf9
	.long	37869698                        ; 0x241d882
	.long	811608089                       ; 0x30602819
	.long	2526526309                      ; 0x9697bb65
	.long	1093836264                      ; 0x41329de8
	.long	3819986000                      ; 0xe3b05c50
	.long	3999750910                      ; 0xee675afe
	.long	415809552                       ; 0x18c8c010
	.long	1441137152                      ; 0x55e60200
	.long	1625850961                      ; 0x60e88451
	.long	1182084155                      ; 0x46752c3b
	.long	1186617400                      ; 0x46ba5838
	;; [unrolled: 5-line block ×3, first 2 shown]
	.long	4149563237                      ; 0xf7554f65
	.long	1040867254                      ; 0x3e0a5fb6
	.long	4208484711                      ; 0xfad86167
	.long	3489019765                      ; 0xcff63775
	.long	3728140516                      ; 0xde36e8e4
	.long	718806958                       ; 0x2ad81fae
	.long	970464748                       ; 0x39d81dec
	.long	2970978888                      ; 0xb1158a48
	.long	1376163015                      ; 0x520694c7
	;; [unrolled: 1-line block ×4, first 2 shown]
	.long	707915046                       ; 0x2a31ed26
	.long	4262557484                      ; 0xfe11772c
	.long	3237019195                      ; 0xc0f0fe3b
	;; [unrolled: 1-line block ×15, first 2 shown]
	.long	299239527                       ; 0x11d60867
	.long	874620372                       ; 0x3421a5d4
	.long	1524158085                      ; 0x5ad8ce85
	.long	872126519                       ; 0x33fb9837
	.long	2431393692                      ; 0x90ec1f9c
	.long	3470601754                      ; 0xcedd2e1a
	;; [unrolled: 1-line block ×3, first 2 shown]
	.long	163166369                       ; 0x9b9b8a1
	.long	2365355125                      ; 0x8cfc7475
	.long	675901368                       ; 0x28496fb8
	.long	824297644                       ; 0x3121c8ac
	;; [unrolled: 1-line block ×3, first 2 shown]
	.long	1626558353                      ; 0x60f34f91
	.long	8139161                         ; 0x7c3199
	.long	1918718045                      ; 0x725d505d
	.long	1780659362                      ; 0x6a22b4a2
	.long	114934718                       ; 0x6d9c3be
	.long	1885224714                      ; 0x705e3f0a
	.long	2424418256                      ; 0x9081afd0
	;; [unrolled: 1-line block ×4, first 2 shown]
	.long	468742651                       ; 0x1bf071fb
	.long	1101039917                      ; 0x41a0892d
	.long	542129690                       ; 0x20503e1a
	.long	77797025                        ; 0x4a316a1
	.long	3282693508                      ; 0xc3a9ed84
	.long	978269731                       ; 0x3a4f3623
	.long	3659653445                      ; 0xda21e145
	.long	2963435579                      ; 0xb0a2703b
	;; [unrolled: 1-line block ×5, first 2 shown]
	.long	539062188                       ; 0x20216fac
	.long	2373300657                      ; 0x8d75b1b1
	.long	1081984526                      ; 0x407dc60e
	;; [unrolled: 1-line block ×7, first 2 shown]
	.long	509186599                       ; 0x1e599227
	.long	1399427071                      ; 0x53698fff
	.long	3197034620                      ; 0xbe8ee07c
	;; [unrolled: 1-line block ×3, first 2 shown]
	.long	891823593                       ; 0x352825e9
	.long	2990167853                      ; 0xb23a572d
	.long	3716581225                      ; 0xdd868769
	;; [unrolled: 1-line block ×12, first 2 shown]
	.long	201639236                       ; 0xc04c544
	.long	2018597841                      ; 0x78515bd1
	.long	774013898                       ; 0x2e2283ca
	.long	3679389549                      ; 0xdb4f076d
	.long	1558413907                      ; 0x5ce38253
	;; [unrolled: 1-line block ×3, first 2 shown]
	.long	56072605                        ; 0x357999d
	.long	2282783575                      ; 0x88108357
	.long	76928699                        ; 0x495d6bb
	.long	3174194320                      ; 0xbd325c90
	.long	1677734845                      ; 0x640033bd
	.long	268031035                       ; 0xff9d43b
	.long	3894905215                      ; 0xe827897f
	.long	3537133983                      ; 0xd2d4619f
	;; [unrolled: 1-line block ×4, first 2 shown]
	.long	366935627                       ; 0x15defe4b
	.long	676262036                       ; 0x284ef094
	;; [unrolled: 1-line block ×3, first 2 shown]
	.long	3406940095                      ; 0xcb11c7bf
	.long	4245889153                      ; 0xfd132081
	;; [unrolled: 1-line block ×12, first 2 shown]
	.long	604517910                       ; 0x24083616
	.long	951873872                       ; 0x38bc7150
	.long	3063256293                      ; 0xb69594e5
	.long	3991708711                      ; 0xedeca427
	;; [unrolled: 1-line block ×4, first 2 shown]
	.long	487381835                       ; 0x1d0cdb4b
	.long	747477232                       ; 0x2c8d98f0
	;; [unrolled: 1-line block ×4, first 2 shown]
	.long	3820353604                      ; 0xe3b5f844
	.long	2898848241                      ; 0xacc8e9f1
	;; [unrolled: 1-line block ×11, first 2 shown]
	.long	22749078                        ; 0x15b1f96
	.long	3757073707                      ; 0xdff0652b
	.long	2464258247                      ; 0x92e198c7
	;; [unrolled: 1-line block ×5, first 2 shown]
	.long	411019237                       ; 0x187fa7e5
	.long	2248466094                      ; 0x8604deae
	.long	3209426720                      ; 0xbf4bf720
	.long	37869698                        ; 0x241d882
	.long	811608089                       ; 0x30602819
	.long	2526526309                      ; 0x9697bb65
	.long	1093836264                      ; 0x41329de8
	.long	535856568                       ; 0x1ff085b8
	.long	3999750910                      ; 0xee675afe
	.long	415809552                       ; 0x18c8c010
	.long	1441137152                      ; 0x55e60200
	.long	1625850961                      ; 0x60e88451
	;; [unrolled: 1-line block ×4, first 2 shown]
	.long	202609936                       ; 0xc139510
	.long	3923360808                      ; 0xe9d9bc28
	.long	2439159233                      ; 0x91629dc1
	;; [unrolled: 1-line block ×9, first 2 shown]
	.long	718806958                       ; 0x2ad81fae
	.long	970464748                       ; 0x39d81dec
	.long	2970978888                      ; 0xb1158a48
	.long	1574663259                      ; 0x5ddb745b
	;; [unrolled: 1-line block ×4, first 2 shown]
	.long	707915046                       ; 0x2a31ed26
	.long	4262557484                      ; 0xfe11772c
	.long	2164217930                      ; 0x80ff584a
	;; [unrolled: 1-line block ×11, first 2 shown]
	.long	324788481                       ; 0x135be101
	.long	1444214949                      ; 0x5614f8a5
	.long	3605618012                      ; 0xd6e95d5c
	;; [unrolled: 1-line block ×3, first 2 shown]
	.long	299239527                       ; 0x11d60867
	.long	4190629945                      ; 0xf9c7f039
	.long	1524158085                      ; 0x5ad8ce85
	.long	872126519                       ; 0x33fb9837
	.long	2431393692                      ; 0x90ec1f9c
	.long	3470601754                      ; 0xcedd2e1a
	;; [unrolled: 1-line block ×3, first 2 shown]
	.long	671547257                       ; 0x2806ff79
	.long	4029965023                      ; 0xf03462df
	.long	1026428282                      ; 0x3d2e0d7a
	;; [unrolled: 1-line block ×6, first 2 shown]
	.long	993551117                       ; 0x3b38630d
	.long	2126319514                      ; 0x7ebd0f9a
	.long	3557113304                      ; 0xd4053dd8
	;; [unrolled: 1-line block ×19, first 2 shown]
	.long	799529013                       ; 0x2fa7d835
	.long	3350558751                      ; 0xc7b5781f
	.long	2552899295                      ; 0x982a26df
	;; [unrolled: 1-line block ×7, first 2 shown]
	.long	111908081                       ; 0x6ab94f1
	.long	2535556715                      ; 0x9721866b
	.long	333570815                       ; 0x13e1e2ff
	.long	3638041929                      ; 0xd8d81d49
	.long	1942569446                      ; 0x73c941e6
	.long	20945397                        ; 0x13f99f5
	.long	3784826827                      ; 0xe197dfcb
	.long	200406456                       ; 0xbf1f5b8
	.long	2640512138                      ; 0x9d63048a
	.long	38390336                        ; 0x249ca40
	.long	436784052                       ; 0x1a08cbb4
	.long	3062106345                      ; 0xb68408e9
	.long	1675333627                      ; 0x63db8ffb
	.long	709613078                       ; 0x2a4bd616
	.long	3479720979                      ; 0xcf685413
	.long	2726065658                      ; 0xa27c75fa
	;; [unrolled: 1-line block ×3, first 2 shown]
	.long	797389139                       ; 0x2f873153
	.long	3492082903                      ; 0xd024f4d7
	.long	3792395750                      ; 0xe20b5de6
	.long	983473383                       ; 0x3a9e9ce7
	.long	2984788349                      ; 0xb1e8417d
	.long	2030282907                      ; 0x7903a89b
	;; [unrolled: 1-line block ×10, first 2 shown]
	.long	777601408                       ; 0x2e594180
	.long	4271704548                      ; 0xfe9d09e4
	.long	1192713934                      ; 0x47175ece
	;; [unrolled: 1-line block ×3, first 2 shown]
	.long	681025927                       ; 0x2897a187
	.long	4078910773                      ; 0xf31f3d35
	.long	619496169                       ; 0x24ecc2e9
	.long	1534725146                      ; 0x5b7a0c1a
	.long	1881987408                      ; 0x702cd950
	;; [unrolled: 1-line block ×17, first 2 shown]
	.long	778662441                       ; 0x2e697229
	.long	422412779                       ; 0x192d81eb
	;; [unrolled: 1-line block ×3, first 2 shown]
	.long	1701569571                      ; 0x656be423
	.long	564088645                       ; 0x219f4f45
	.long	469973310                       ; 0x1c03393e
	;; [unrolled: 1-line block ×3, first 2 shown]
	.long	3963642101                      ; 0xec4060f5
	.long	555781470                       ; 0x21208d5e
	.long	2983576224                      ; 0xb1d5c2a0
	.long	1757897888                      ; 0x68c764a0
	;; [unrolled: 1-line block ×4, first 2 shown]
	.long	916790568                       ; 0x36a51d28
	.long	3057610889                      ; 0xb63f7089
	.long	196828641                       ; 0xbbb5de1
	.long	1435167402                      ; 0x558aeaaa
	;; [unrolled: 2-line block ×3, first 2 shown]
	.long	2691769282                      ; 0xa07123c2
	.long	3572566918                      ; 0xd4f10b86
	;; [unrolled: 1-line block ×8, first 2 shown]
	.long	801124461                       ; 0x2fc0306d
	.long	760477862                       ; 0x2d53f8a6
	.long	2416958233                      ; 0x900fdb19
	.long	3439465675                      ; 0xcd0214cb
	.long	3561763524                      ; 0xd44c32c4
	.long	1760392811                      ; 0x68ed766b
	.long	1582406751                      ; 0x5e519c5f
	.long	1203071257                      ; 0x47b56919
	.long	755811399                       ; 0x2d0cc447
	.long	2675585013                      ; 0x9f7a2ff5
	.long	1150664766                      ; 0x4495c03e
	;; [unrolled: 1-line block ×18, first 2 shown]
	.long	101501715                       ; 0x60ccb13
	.long	1234710482                      ; 0x49982fd2
	.long	750428334                       ; 0x2cbaa0ae
	.long	2870070395                      ; 0xab11cc7b
	;; [unrolled: 2-line block ×3, first 2 shown]
	.long	3807926874                      ; 0xe2f85a5a
	.long	3035407103                      ; 0xb4eca2ff
	;; [unrolled: 1-line block ×4, first 2 shown]
	.long	963796562                       ; 0x39725e52
	.long	3233132139                      ; 0xc0b5ae6b
	.long	2590859502                      ; 0x9a6d60ee
	;; [unrolled: 1-line block ×3, first 2 shown]
	.long	964355909                       ; 0x397ae745
	.long	2882980002                      ; 0xabd6c8a2
	.long	2211288683                      ; 0x83cd966b
	.long	872766101                       ; 0x34055a95
	.long	3713771728                      ; 0xdd5ba8d0
	.long	1429983118                      ; 0x553bcf8e
	;; [unrolled: 1-line block ×3, first 2 shown]
	.long	827699420                       ; 0x3155b0dc
	.long	1288565883                      ; 0x4ccdf47b
	.long	2985727214                      ; 0xb1f694ee
	;; [unrolled: 1-line block ×7, first 2 shown]
	.long	385953581                       ; 0x17012f2d
	.long	189931252                       ; 0xb521ef4
	.long	2044235060                      ; 0x79d88d34
	.long	4214733958                      ; 0xfb37bc86
	;; [unrolled: 1-line block ×4, first 2 shown]
	.long	494148492                       ; 0x1d741b8c
	.long	1550568689                      ; 0x5c6bccf1
	.long	3646957712                      ; 0xd9602890
	;; [unrolled: 1-line block ×9, first 2 shown]
	.long	180837718                       ; 0xac75d56
	.long	2588730975                      ; 0x9a4ce65f
	.long	1481586714                      ; 0x584f381a
	;; [unrolled: 1-line block ×10, first 2 shown]
	.long	330320182                       ; 0x13b04936
	.long	1165093128                      ; 0x4571e908
	.long	2125767818                      ; 0x7eb4a48a
	.long	904192995                       ; 0x35e4e3e3
	.long	51833064                        ; 0x316e8e8
	.long	232302906                       ; 0xdd8a93a
	.long	1834422179                      ; 0x6d570fa3
	.long	476731510                       ; 0x1c6a5876
	.long	3484170517                      ; 0xcfac3915
	.long	2373156680                      ; 0x8d737f48
	;; [unrolled: 1-line block ×4, first 2 shown]
	.long	463611489                       ; 0x1ba22661
	.long	3759685710                      ; 0xe018404e
	.long	62038708                        ; 0x3b2a2b4
	.long	2357334250                      ; 0x8c8210ea
	.long	1230002441                      ; 0x49505909
	.long	520303451                       ; 0x1f03335b
	.long	3009758047                      ; 0xb365435f
	.long	1882263827                      ; 0x70311113
	;; [unrolled: 1-line block ×15, first 2 shown]
	.long	354419222                       ; 0x15200216
	.long	4108171950                      ; 0xf4ddbaae
	.long	601260554                       ; 0x23d6820a
	.long	705389180                       ; 0x2a0b627c
	.long	4081137445                      ; 0xf3413725
	.long	3461353436                      ; 0xce500fdc
	.long	399768111                       ; 0x17d3fa2f
	.long	3963945521                      ; 0xec450231
	.long	2094962544                      ; 0x7cde9770
	.long	630762046                       ; 0x2598aa3e
	.long	369047181                       ; 0x15ff368d
	.long	3495709267                      ; 0xd05c4a53
	.long	3525452874                      ; 0xd222244a
	.long	314919391                       ; 0x12c549df
	.long	2152657907                      ; 0x804ef3f3
	.long	881476500                       ; 0x348a4394
	.long	3565507827                      ; 0xd48554f3
	.long	2594931381                      ; 0x9aab82b5
	.long	579458905                       ; 0x2289d759
	.long	1767988684                      ; 0x69615dcc
	.long	2678728511                      ; 0x9faa273f
	;; [unrolled: 1-line block ×10, first 2 shown]
	.long	456578131                       ; 0x1b36d453
	.long	3881530201                      ; 0xe75b7359
	.long	190710543                       ; 0xb5e030f
	.long	1721255927                      ; 0x669847f7
	.long	2274887963                      ; 0x8798091b
	.long	187713135                       ; 0xb30466f
	.long	2209254952                      ; 0x83ae8e28
	.long	2185750138                      ; 0x8247e67a
	;; [unrolled: 1-line block ×3, first 2 shown]
	.long	482133467                       ; 0x1cbcc5db
	.long	2758198810                      ; 0xa466c61a
	.long	15147949                        ; 0xe723ad
	.long	536333711                       ; 0x1ff7cd8f
	.long	2296185346                      ; 0x88dd0202
	.long	1103433779                      ; 0x41c51033
	;; [unrolled: 1-line block ×6, first 2 shown]
	.long	533935893                       ; 0x1fd33715
	.long	3567030810                      ; 0xd49c921a
	.long	1900900411                      ; 0x714d703b
	.long	509578395                       ; 0x1e5f8c9b
	.long	3810017456                      ; 0xe31840b0
	.long	2134110040                      ; 0x7f33ef58
	;; [unrolled: 1-line block ×4, first 2 shown]
	.long	201278263                       ; 0xbff4337
	.long	3933249682                      ; 0xea70a092
	.long	3849960474                      ; 0xe579bc1a
	;; [unrolled: 1-line block ×8, first 2 shown]
	.long	511213077                       ; 0x1e787e15
	.long	3412599909                      ; 0xcb682465
	.long	1712118363                      ; 0x660cda5b
	.long	54054007                        ; 0x338cc77
	.long	442729047                       ; 0x1a638257
	.long	3077267414                      ; 0xb76b5fd6
	.long	1532701769                      ; 0x5b5b2c49
	.long	181534938                       ; 0xad200da
	.long	1278069867                      ; 0x4c2dcc6b
	.long	3847149992                      ; 0xe54ed9a8
	;; [unrolled: 1-line block ×5, first 2 shown]
	.long	361856758                       ; 0x15917ef6
	.long	452490341                       ; 0x1af87465
	;; [unrolled: 1-line block ×3, first 2 shown]
	.long	1733216839                      ; 0x674eca47
	.long	3788548638                      ; 0xe1d0aa1e
	;; [unrolled: 1-line block ×5, first 2 shown]
	.long	976767752                       ; 0x3a384b08
	.long	2882980002                      ; 0xabd6c8a2
	.long	2211288683                      ; 0x83cd966b
	.long	872766101                       ; 0x34055a95
	.long	3713771728                      ; 0xdd5ba8d0
	.long	895830110                       ; 0x3565485e
	;; [unrolled: 2-line block ×3, first 2 shown]
	.long	1288565883                      ; 0x4ccdf47b
	.long	2985727214                      ; 0xb1f694ee
	;; [unrolled: 1-line block ×8, first 2 shown]
	.long	189931252                       ; 0xb521ef4
	.long	2044235060                      ; 0x79d88d34
	.long	4214733958                      ; 0xfb37bc86
	;; [unrolled: 1-line block ×4, first 2 shown]
	.long	494148492                       ; 0x1d741b8c
	.long	1550568689                      ; 0x5c6bccf1
	.long	3646957712                      ; 0xd9602890
	;; [unrolled: 1-line block ×8, first 2 shown]
	.long	907760376                       ; 0x361b52f8
	.long	180837718                       ; 0xac75d56
	.long	2588730975                      ; 0x9a4ce65f
	.long	1481586714                      ; 0x584f381a
	.long	2836300053                      ; 0xa90e8115
	.long	639229964                       ; 0x2619e00c
	.long	4010897189                      ; 0xef116f25
	.long	3392273121                      ; 0xca31fae1
	;; [unrolled: 1-line block ×6, first 2 shown]
	.long	330320182                       ; 0x13b04936
	.long	1165093128                      ; 0x4571e908
	.long	2125767818                      ; 0x7eb4a48a
	.long	253264555                       ; 0xf1882ab
	.long	51833064                        ; 0x316e8e8
	.long	232302906                       ; 0xdd8a93a
	.long	1834422179                      ; 0x6d570fa3
	.long	476731510                       ; 0x1c6a5876
	.long	4284481518                      ; 0xff5fffee
	.long	2373156680                      ; 0x8d737f48
	;; [unrolled: 1-line block ×4, first 2 shown]
	.long	463611489                       ; 0x1ba22661
	.long	4133115610                      ; 0xf65a56da
	.long	62038708                        ; 0x3b2a2b4
	.long	2357334250                      ; 0x8c8210ea
	.long	1230002441                      ; 0x49505909
	.long	520303451                       ; 0x1f03335b
	.long	1497001150                      ; 0x593a6cbe
	.long	1882263827                      ; 0x70311113
	.long	2524779298                      ; 0x967d1322
	.long	1736323157                      ; 0x677e3055
	.long	3883037541                      ; 0xe7727365
	.long	3541909847                      ; 0xd31d4157
	.long	1137565179                      ; 0x43cdddfb
	.long	3112310886                      ; 0xb9821866
	.long	3524287283                      ; 0xd2105b33
	.long	3064002681                      ; 0xb6a0f879
	.long	3193060438                      ; 0xbe523c56
	.long	3180534967                      ; 0xbd931cb7
	.long	2463036338                      ; 0x92cef3b2
	.long	1859639515                      ; 0x6ed7d8db
	.long	1319061987                      ; 0x4e9f49e3
	.long	111871878                       ; 0x6ab0786
	.long	4108171950                      ; 0xf4ddbaae
	.long	601260554                       ; 0x23d6820a
	.long	705389180                       ; 0x2a0b627c
	.long	4081137445                      ; 0xf3413725
	.long	742999102                       ; 0x2c49443e
	.long	399768111                       ; 0x17d3fa2f
	.long	3963945521                      ; 0xec450231
	.long	2094962544                      ; 0x7cde9770
	.long	630762046                       ; 0x2598aa3e
	.long	3219207950                      ; 0xbfe1370e
	.long	3495709267                      ; 0xd05c4a53
	;; [unrolled: 1-line block ×3, first 2 shown]
	.long	314919391                       ; 0x12c549df
	.long	2152657907                      ; 0x804ef3f3
	.long	720863934                       ; 0x2af782be
	.long	3565507827                      ; 0xd48554f3
	.long	2594931381                      ; 0x9aab82b5
	.long	579458905                       ; 0x2289d759
	.long	1767988684                      ; 0x69615dcc
	.long	3958525287                      ; 0xebf24d67
	;; [unrolled: 1-line block ×10, first 2 shown]
	.long	456578131                       ; 0x1b36d453
	.long	302729329                       ; 0x120b4871
	.long	190710543                       ; 0xb5e030f
	.long	1721255927                      ; 0x669847f7
	.long	2274887963                      ; 0x8798091b
	.long	187713135                       ; 0xb30466f
	.long	1293706587                      ; 0x4d1c655b
	.long	2185750138                      ; 0x8247e67a
	;; [unrolled: 1-line block ×3, first 2 shown]
	.long	482133467                       ; 0x1cbcc5db
	.long	2758198810                      ; 0xa466c61a
	.long	2514965671                      ; 0x95e754a7
	.long	536333711                       ; 0x1ff7cd8f
	.long	2296185346                      ; 0x88dd0202
	.long	1103433779                      ; 0x41c51033
	;; [unrolled: 1-line block ×6, first 2 shown]
	.long	533935893                       ; 0x1fd33715
	.long	3567030810                      ; 0xd49c921a
	.long	3793156627                      ; 0xe216fa13
	.long	509578395                       ; 0x1e5f8c9b
	.long	3810017456                      ; 0xe31840b0
	.long	2134110040                      ; 0x7f33ef58
	;; [unrolled: 1-line block ×3, first 2 shown]
	.long	1358364                         ; 0x14ba1c
	.long	201278263                       ; 0xbff4337
	.long	3933249682                      ; 0xea70a092
	.long	3849960474                      ; 0xe579bc1a
	;; [unrolled: 1-line block ×3, first 2 shown]
	.long	628476542                       ; 0x2575ca7e
	.long	1355284593                      ; 0x50c80071
	.long	2444811561                      ; 0x91b8dd29
	;; [unrolled: 1-line block ×7, first 2 shown]
	.long	54054007                        ; 0x338cc77
	.long	442729047                       ; 0x1a638257
	.long	325825294                       ; 0x136bb30e
	.long	1532701769                      ; 0x5b5b2c49
	.long	181534938                       ; 0xad200da
	.long	1278069867                      ; 0x4c2dcc6b
	.long	3847149992                      ; 0xe54ed9a8
	;; [unrolled: 1-line block ×5, first 2 shown]
	.long	361856758                       ; 0x15917ef6
	.long	452490341                       ; 0x1af87465
	.long	1099532083                      ; 0x41898733
	.long	1733216839                      ; 0x674eca47
	;; [unrolled: 1-line block ×6, first 2 shown]
	.long	976767752                       ; 0x3a384b08
	.long	2882980002                      ; 0xabd6c8a2
	.long	2211288683                      ; 0x83cd966b
	.long	872766101                       ; 0x34055a95
	.long	366378371                       ; 0x15d67d83
	;; [unrolled: 1-line block ×3, first 2 shown]
	.long	2069599564                      ; 0x7b5b954c
	.long	827699420                       ; 0x3155b0dc
	.long	1288565883                      ; 0x4ccdf47b
	.long	962962884                       ; 0x3965a5c4
	.long	3377496544                      ; 0xc95081e0
	.long	2138389854                      ; 0x7f753d5e
	;; [unrolled: 1-line block ×6, first 2 shown]
	.long	189931252                       ; 0xb521ef4
	.long	2044235060                      ; 0x79d88d34
	.long	4214733958                      ; 0xfb37bc86
	;; [unrolled: 1-line block ×4, first 2 shown]
	.long	494148492                       ; 0x1d741b8c
	.long	1550568689                      ; 0x5c6bccf1
	.long	3646957712                      ; 0xd9602890
	.long	758370067                       ; 0x2d33cf13
	.long	2869825005                      ; 0xab0e0ded
	.long	1411407684                      ; 0x54205f44
	;; [unrolled: 1-line block ×4, first 2 shown]
	.long	636166267                       ; 0x25eb207b
	.long	907760376                       ; 0x361b52f8
	;; [unrolled: 1-line block ×3, first 2 shown]
	.long	2588730975                      ; 0x9a4ce65f
	.long	1481586714                      ; 0x584f381a
	.long	705382583                       ; 0x2a0b48b7
	.long	639229964                       ; 0x2619e00c
	.long	4010897189                      ; 0xef116f25
	.long	3392273121                      ; 0xca31fae1
	;; [unrolled: 1-line block ×6, first 2 shown]
	.long	330320182                       ; 0x13b04936
	.long	1165093128                      ; 0x4571e908
	.long	2956382339                      ; 0xb036d083
	.long	253264555                       ; 0xf1882ab
	.long	51833064                        ; 0x316e8e8
	.long	232302906                       ; 0xdd8a93a
	.long	1834422179                      ; 0x6d570fa3
	.long	3665645898                      ; 0xda7d514a
	;; [unrolled: 1-line block ×8, first 2 shown]
	.long	62038708                        ; 0x3b2a2b4
	.long	2357334250                      ; 0x8c8210ea
	.long	1230002441                      ; 0x49505909
	;; [unrolled: 1-line block ×7, first 2 shown]
	.long	817630445                       ; 0x30bc0ced
	.long	3541909847                      ; 0xd31d4157
	.long	1137565179                      ; 0x43cdddfb
	;; [unrolled: 1-line block ×10, first 2 shown]
	.long	111871878                       ; 0x6ab0786
	.long	4108171950                      ; 0xf4ddbaae
	.long	601260554                       ; 0x23d6820a
	.long	705389180                       ; 0x2a0b627c
	.long	1776439965                      ; 0x69e2529d
	.long	742999102                       ; 0x2c49443e
	.long	399768111                       ; 0x17d3fa2f
	.long	3963945521                      ; 0xec450231
	.long	2094962544                      ; 0x7cde9770
	;; [unrolled: 1-line block ×6, first 2 shown]
	.long	314919391                       ; 0x12c549df
	.long	3877039785                      ; 0xe716eea9
	.long	720863934                       ; 0x2af782be
	.long	3565507827                      ; 0xd48554f3
	.long	2594931381                      ; 0x9aab82b5
	.long	579458905                       ; 0x2289d759
	.long	2919403199                      ; 0xae028ebf
	.long	3958525287                      ; 0xebf24d67
	;; [unrolled: 1-line block ×5, first 2 shown]
	.long	960765392                       ; 0x39441dd0
	.long	4227838648                      ; 0xfbffb2b8
	.long	2998421769                      ; 0xb2b84909
	;; [unrolled: 1-line block ×5, first 2 shown]
	.long	302729329                       ; 0x120b4871
	.long	190710543                       ; 0xb5e030f
	.long	1721255927                      ; 0x669847f7
	.long	2274887963                      ; 0x8798091b
	;; [unrolled: 1-line block ×6, first 2 shown]
	.long	482133467                       ; 0x1cbcc5db
	.long	3838280                         ; 0x3a9148
	.long	2514965671                      ; 0x95e754a7
	.long	536333711                       ; 0x1ff7cd8f
	.long	2296185346                      ; 0x88dd0202
	.long	1103433779                      ; 0x41c51033
	;; [unrolled: 1-line block ×6, first 2 shown]
	.long	533935893                       ; 0x1fd33715
	.long	4172021805                      ; 0xf8ac002d
	.long	3793156627                      ; 0xe216fa13
	.long	509578395                       ; 0x1e5f8c9b
	.long	3810017456                      ; 0xe31840b0
	.long	2134110040                      ; 0x7f33ef58
	;; [unrolled: 1-line block ×3, first 2 shown]
	.long	1358364                         ; 0x14ba1c
	.long	201278263                       ; 0xbff4337
	.long	3933249682                      ; 0xea70a092
	.long	3849960474                      ; 0xe579bc1a
	.long	2445690023                      ; 0x91c644a7
	.long	628476542                       ; 0x2575ca7e
	.long	1355284593                      ; 0x50c80071
	.long	2444811561                      ; 0x91b8dd29
	.long	2751112324                      ; 0xa3faa484
	;; [unrolled: 4-line block ×3, first 2 shown]
	.long	54054007                        ; 0x338cc77
	.long	770634305                       ; 0x2deef241
	.long	325825294                       ; 0x136bb30e
	.long	1532701769                      ; 0x5b5b2c49
	.long	181534938                       ; 0xad200da
	.long	1278069867                      ; 0x4c2dcc6b
	.long	4055596097                      ; 0xf1bb7c41
	;; [unrolled: 1-line block ×5, first 2 shown]
	.long	361856758                       ; 0x15917ef6
	.long	3439427065                      ; 0xcd017df9
	.long	1099532083                      ; 0x41898733
	;; [unrolled: 1-line block ×7, first 2 shown]
	.long	976767752                       ; 0x3a384b08
	.long	2882980002                      ; 0xabd6c8a2
	.long	2211288683                      ; 0x83cd966b
	;; [unrolled: 1-line block ×3, first 2 shown]
	.long	366378371                       ; 0x15d67d83
	.long	895830110                       ; 0x3565485e
	.long	2069599564                      ; 0x7b5b954c
	.long	827699420                       ; 0x3155b0dc
	.long	2457443913                      ; 0x92799e49
	;; [unrolled: 2-line block ×3, first 2 shown]
	.long	2138389854                      ; 0x7f753d5e
	.long	3915615927                      ; 0xe9638eb7
	;; [unrolled: 1-line block ×5, first 2 shown]
	.long	189931252                       ; 0xb521ef4
	.long	2044235060                      ; 0x79d88d34
	.long	4275822963                      ; 0xfedbe173
	;; [unrolled: 1-line block ×4, first 2 shown]
	.long	494148492                       ; 0x1d741b8c
	.long	1550568689                      ; 0x5c6bccf1
	.long	1043420085                      ; 0x3e3153b5
	.long	758370067                       ; 0x2d33cf13
	.long	2869825005                      ; 0xab0e0ded
	.long	1411407684                      ; 0x54205f44
	;; [unrolled: 1-line block ×3, first 2 shown]
	.long	676378812                       ; 0x2850b8bc
	.long	636166267                       ; 0x25eb207b
	;; [unrolled: 1-line block ×4, first 2 shown]
	.long	2588730975                      ; 0x9a4ce65f
	.long	2971715054                      ; 0xb120c5ee
	.long	705382583                       ; 0x2a0b48b7
	.long	639229964                       ; 0x2619e00c
	.long	4010897189                      ; 0xef116f25
	.long	3392273121                      ; 0xca31fae1
	.long	795184546                       ; 0x2f658da2
	.long	3815622040                      ; 0xe36dc598
	.long	3006792787                      ; 0xb3380453
	;; [unrolled: 1-line block ×3, first 2 shown]
	.long	330320182                       ; 0x13b04936
	.long	1990804460                      ; 0x76a943ec
	.long	2956382339                      ; 0xb036d083
	.long	253264555                       ; 0xf1882ab
	.long	51833064                        ; 0x316e8e8
	.long	232302906                       ; 0xdd8a93a
	.long	836875615                       ; 0x31e1b55f
	.long	3665645898                      ; 0xda7d514a
	.long	4284481518                      ; 0xff5fffee
	;; [unrolled: 1-line block ×4, first 2 shown]
	.long	98106795                        ; 0x5d8fdab
	.long	2565987890                      ; 0x98f1de32
	.long	4133115610                      ; 0xf65a56da
	.long	62038708                        ; 0x3b2a2b4
	.long	2357334250                      ; 0x8c8210ea
	.long	2761212145                      ; 0xa494c0f1
	;; [unrolled: 1-line block ×7, first 2 shown]
	.long	817630445                       ; 0x30bc0ced
	.long	3541909847                      ; 0xd31d4157
	.long	1137565179                      ; 0x43cdddfb
	;; [unrolled: 1-line block ×10, first 2 shown]
	.long	111871878                       ; 0x6ab0786
	.long	4108171950                      ; 0xf4ddbaae
	.long	601260554                       ; 0x23d6820a
	.long	1017043724                      ; 0x3c9edb0c
	.long	1776439965                      ; 0x69e2529d
	.long	742999102                       ; 0x2c49443e
	.long	399768111                       ; 0x17d3fa2f
	.long	3963945521                      ; 0xec450231
	.long	2177838102                      ; 0x81cf2c16
	.long	2007137733                      ; 0x77a27dc5
	.long	3219207950                      ; 0xbfe1370e
	.long	3495709267                      ; 0xd05c4a53
	.long	3525452874                      ; 0xd222244a
	.long	3254054416                      ; 0xc1f4ee10
	.long	3877039785                      ; 0xe716eea9
	.long	720863934                       ; 0x2af782be
	.long	3565507827                      ; 0xd48554f3
	.long	2594931381                      ; 0x9aab82b5
	;; [unrolled: 1-line block ×8, first 2 shown]
	.long	960765392                       ; 0x39441dd0
	.long	4227838648                      ; 0xfbffb2b8
	.long	2998421769                      ; 0xb2b84909
	;; [unrolled: 1-line block ×5, first 2 shown]
	.long	302729329                       ; 0x120b4871
	.long	190710543                       ; 0xb5e030f
	.long	1721255927                      ; 0x669847f7
	.long	2914584080                      ; 0xadb90610
	;; [unrolled: 1-line block ×6, first 2 shown]
	.long	810756083                       ; 0x305327f3
	.long	3838280                         ; 0x3a9148
	.long	2514965671                      ; 0x95e754a7
	.long	536333711                       ; 0x1ff7cd8f
	.long	2296185346                      ; 0x88dd0202
	.long	1776509588                      ; 0x69e36294
	;; [unrolled: 1-line block ×9, first 2 shown]
	.long	509578395                       ; 0x1e5f8c9b
	.long	3810017456                      ; 0xe31840b0
	.long	3042185034                      ; 0xb5540f4a
	;; [unrolled: 1-line block ×3, first 2 shown]
	.long	1358364                         ; 0x14ba1c
	.long	201278263                       ; 0xbff4337
	.long	3933249682                      ; 0xea70a092
	.long	3551449718                      ; 0xd3aed276
	.long	2445690023                      ; 0x91c644a7
	.long	628476542                       ; 0x2575ca7e
	.long	1355284593                      ; 0x50c80071
	.long	2444811561                      ; 0x91b8dd29
	.long	3480611728                      ; 0xcf75eb90
	;; [unrolled: 4-line block ×3, first 2 shown]
	.long	1268921331                      ; 0x4ba233f3
	.long	770634305                       ; 0x2deef241
	.long	325825294                       ; 0x136bb30e
	.long	1532701769                      ; 0x5b5b2c49
	.long	181534938                       ; 0xad200da
	.long	2645357587                      ; 0x9dacf413
	.long	4055596097                      ; 0xf1bb7c41
	;; [unrolled: 1-line block ×17, first 2 shown]
	.long	931260821                       ; 0x3781e995
	.long	2754727582                      ; 0xa431ce9e
	.long	1286176949                      ; 0x4ca980b5
	;; [unrolled: 1-line block ×7, first 2 shown]
	.long	162324152                       ; 0x9acdeb8
	.long	425506096                       ; 0x195cb530
	.long	3777762686                      ; 0xe12c157e
	.long	13687528                        ; 0xd0dae8
	.long	710105607                       ; 0x2a535a07
	.long	1092739920                      ; 0x4121e350
	.long	2930179533                      ; 0xaea6fdcd
	.long	568855389                       ; 0x21e80b5d
	.long	2476208631                      ; 0x9397f1f7
	.long	964360978                       ; 0x397afb12
	.long	2011445117                      ; 0x77e4377d
	.long	3887128674                      ; 0xe7b0e062
	;; [unrolled: 1-line block ×4, first 2 shown]
	.long	814368438                       ; 0x308a46b6
	.long	2018629666                      ; 0x7851d822
	.long	909662384                       ; 0x363858b0
	.long	231589584                       ; 0xdcdc6d0
	.long	1422241284                      ; 0x54c5ae04
	.long	4035938208                      ; 0xf08f87a0
	;; [unrolled: 1-line block ×3, first 2 shown]
	.long	660700421                       ; 0x27617d05
	.long	603857869                       ; 0x23fe23cd
	;; [unrolled: 1-line block ×3, first 2 shown]
	.long	3232044670                      ; 0xc0a5167e
	.long	291307502                       ; 0x115cffee
	.long	947817625                       ; 0x387e8c99
	.long	3466590280                      ; 0xce9ff848
	.long	3080261993                      ; 0xb7991169
	.long	947835229                       ; 0x387ed15d
	.long	2925888682                      ; 0xae6584aa
	.long	1817591844                      ; 0x6c564024
	;; [unrolled: 1-line block ×6, first 2 shown]
	.long	505331227                       ; 0x1e1ebe1b
	.long	1863531052                      ; 0x6f133a2c
	.long	2928506098                      ; 0xae8d74f2
	.long	947547681                       ; 0x387a6e21
	.long	1117344443                      ; 0x429952bb
	.long	781457023                       ; 0x2e94167f
	.long	607542746                       ; 0x24365dda
	;; [unrolled: 1-line block ×3, first 2 shown]
	.long	3797150797                      ; 0xe253ec4d
	.long	105381589                       ; 0x647fed5
	.long	361541961                       ; 0x158cb149
	.long	3393121650                      ; 0xca3eed72
	.long	3840152184                      ; 0xe4e41278
	;; [unrolled: 1-line block ×6, first 2 shown]
	.long	96787532                        ; 0x5c4dc4c
	.long	2556617898                      ; 0x9862e4aa
	.long	1237726058                      ; 0x49c6336a
	;; [unrolled: 1-line block ×4, first 2 shown]
	.long	461661595                       ; 0x1b84659b
	.long	2632346030                      ; 0x9ce669ae
	.long	1775614319                      ; 0x69d5b96f
	;; [unrolled: 1-line block ×10, first 2 shown]
	.long	706141458                       ; 0x2a16dd12
	.long	2064189273                      ; 0x7b090759
	.long	346938484                       ; 0x14addc74
	.long	2964350202                      ; 0xb0b064fa
	.long	3731612957                      ; 0xde6be51d
	;; [unrolled: 1-line block ×6, first 2 shown]
	.long	988876930                       ; 0x3af11082
	.long	2960173442                      ; 0xb070a982
	.long	559685520                       ; 0x215c1f90
	.long	2719943441                      ; 0xa21f0b11
	;; [unrolled: 2-line block ×3, first 2 shown]
	.long	1223301894                      ; 0x48ea1b06
	.long	3666960271                      ; 0xda915f8f
	;; [unrolled: 1-line block ×4, first 2 shown]
	.long	38877327                        ; 0x251388f
	.long	3803211467                      ; 0xe2b066cb
	.long	4000053051                      ; 0xee6bf73b
	;; [unrolled: 1-line block ×5, first 2 shown]
	.long	721190747                       ; 0x2afc7f5b
	.long	1933504723                      ; 0x733ef0d3
	.long	3110735238                      ; 0xb96a0d86
	;; [unrolled: 1-line block ×4, first 2 shown]
	.long	595257962                       ; 0x237aea6a
	.long	4120745072                      ; 0xf59d9470
	.long	960219089                       ; 0x393bc7d1
	.long	2591080970                      ; 0x9a70c20a
	.long	3354222743                      ; 0xc7ed6097
	.long	47827627                        ; 0x2d9caab
	.long	3759509914                      ; 0xe015919a
	.long	304815919                       ; 0x122b1f2f
	.long	2643673615                      ; 0x9d93420f
	.long	1381570381                      ; 0x5259174d
	;; [unrolled: 1-line block ×12, first 2 shown]
	.long	904183710                       ; 0x35e4bf9e
	.long	4243944530                      ; 0xfcf57452
	.long	2742129811                      ; 0xa3719493
	;; [unrolled: 1-line block ×11, first 2 shown]
	.long	762022558                       ; 0x2d6b8a9e
	.long	8747231                         ; 0x8578df
	.long	334416849                       ; 0x13eecbd1
	.long	1219880856                      ; 0x48b5e798
	.long	187900356                       ; 0xb3321c4
	.long	2527057367                      ; 0x969fd5d7
	.long	1730455958                      ; 0x6724a996
	.long	3240238410                      ; 0xc1221d4a
	.long	906024910                       ; 0x3600d7ce
	.long	2351575735                      ; 0x8c2a32b7
	.long	4207748622                      ; 0xfacd260e
	.long	936139767                       ; 0x37cc5bf7
	.long	1984289988                      ; 0x7645dcc4
	.long	285939331                       ; 0x110b1683
	.long	4246897171                      ; 0xfd228213
	.long	2217508286                      ; 0x842c7dbe
	;; [unrolled: 1-line block ×6, first 2 shown]
	.long	623718443                       ; 0x252d302b
	.long	2276396692                      ; 0x87af0e94
	.long	3772091798                      ; 0xe0d58d96
	;; [unrolled: 1-line block ×3, first 2 shown]
	.long	710314822                       ; 0x2a568b46
	.long	3733316262                      ; 0xde85e2a6
	.long	1497955597                      ; 0x5948fd0d
	.long	700242668                       ; 0x29bcdaec
	.long	3582720207                      ; 0xd58bf8cf
	.long	1247731879                      ; 0x4a5ee0a7
	.long	336477088                       ; 0x140e3ba0
	.long	532374143                       ; 0x1fbb627f
	.long	1123157198                      ; 0x42f204ce
	.long	123828173                       ; 0x76177cd
	.long	272472192                       ; 0x103d9880
	.long	2142741093                      ; 0x7fb7a265
	.long	2557920990                      ; 0x9876c6de
	;; [unrolled: 1-line block ×7, first 2 shown]
	.long	215335417                       ; 0xcd5c1f9
	.long	1252724071                      ; 0x4aab0d67
	.long	4267389372                      ; 0xfe5b31bc
	.long	94668579                        ; 0x5a48723
	.long	1980152960                      ; 0x7606bc80
	.long	968677393                       ; 0x39bcd811
	.long	1237744359                      ; 0x49c67ae7
	.long	63833646                        ; 0x3ce062e
	.long	2488747616                      ; 0x94574660
	.long	700459471                       ; 0x29c029cf
	.long	744977323                       ; 0x2c6773ab
	.long	40829823                        ; 0x26f037f
	.long	955400639                       ; 0x38f241bf
	.long	37187948                        ; 0x237716c
	.long	53133706                        ; 0x32ac18a
	.long	2014551043                      ; 0x78139c03
	.long	1664982537                      ; 0x633d9e09
	;; [unrolled: 1-line block ×13, first 2 shown]
	.long	168718075                       ; 0xa0e6efb
	.long	2435805251                      ; 0x912f7043
	.long	588815465                       ; 0x23189c69
	.long	3166271130                      ; 0xbcb9769a
	.long	3164200096                      ; 0xbc99dca0
	.long	417809976                       ; 0x18e74638
	.long	623036767                       ; 0x2522c95f
	;; [unrolled: 1-line block ×3, first 2 shown]
	.long	1792214783                      ; 0x6ad306ff
	.long	56330125                        ; 0x35b878d
	.long	3268029211                      ; 0xc2ca2b1b
	.long	1117100306                      ; 0x42959912
	.long	345899179                       ; 0x149e00ab
	.long	1547071836                      ; 0x5c36715c
	.long	3657965225                      ; 0xda081ea9
	;; [unrolled: 1-line block ×3, first 2 shown]
	.long	664937685                       ; 0x27a224d5
	.long	2627187961                      ; 0x9c97b4f9
	.long	149301108                       ; 0x8e62774
	.long	1764003230                      ; 0x69248d9e
	.long	3177910586                      ; 0xbd6b113a
	;; [unrolled: 1-line block ×6, first 2 shown]
	.long	971284719                       ; 0x39e4a0ef
	.long	3224921758                      ; 0xc038669e
	.long	3336906843                      ; 0xc6e5285b
	;; [unrolled: 1-line block ×10, first 2 shown]
	.long	459692505                       ; 0x1b6659d9
	.long	3546328518                      ; 0xd360adc6
	.long	3071448159                      ; 0xb712945f
	;; [unrolled: 1-line block ×5, first 2 shown]
	.long	99113127                        ; 0x5e858a7
	.long	4281059076                      ; 0xff2bc704
	.long	1658649136                      ; 0x62dcfa30
	;; [unrolled: 1-line block ×13, first 2 shown]
	.long	915286167                       ; 0x368e2897
	.long	1553874575                      ; 0x5c9e3e8f
	.long	3466388216                      ; 0xce9ce2f8
	.long	701000054                       ; 0x29c86976
	.long	349103195                       ; 0x14cee45b
	.long	1554395274                      ; 0x5ca6308a
	.long	3140941933                      ; 0xbb36f86d
	;; [unrolled: 1-line block ×5, first 2 shown]
	.long	321399291                       ; 0x132829fb
	.long	1158058020                      ; 0x45069024
	.long	3570908149                      ; 0xd4d7bbf5
	.long	122802750                       ; 0x751d23e
	.long	3012686842                      ; 0xb391f3fa
	.long	2588402967                      ; 0x9a47e517
	;; [unrolled: 1-line block ×3, first 2 shown]
	.long	581016671                       ; 0x22a19c5f
	.long	193235885                       ; 0xb848bad
	.long	1558092297                      ; 0x5cde9a09
	.long	1233353728                      ; 0x49837c00
	;; [unrolled: 1-line block ×10, first 2 shown]
	.long	922252155                       ; 0x36f8737b
	.long	569761460                       ; 0x21f5deb4
	.long	3215661310                      ; 0xbfab18fe
	.long	2450710288                      ; 0x9212df10
	;; [unrolled: 1-line block ×3, first 2 shown]
	.long	632504591                       ; 0x25b3410f
	.long	2169581755                      ; 0x815130bb
	.long	2552457727                      ; 0x982369ff
	;; [unrolled: 1-line block ×4, first 2 shown]
	.long	681756629                       ; 0x28a2c7d5
	.long	801451286                       ; 0x2fc52d16
	.long	3504956478                      ; 0xd0e9643e
	.long	1308297539                      ; 0x4dfb0943
	;; [unrolled: 1-line block ×7, first 2 shown]
	.long	570161747                       ; 0x21fbfa53
	.long	4246897171                      ; 0xfd228213
	.long	2217508286                      ; 0x842c7dbe
	;; [unrolled: 1-line block ×4, first 2 shown]
	.long	756072139                       ; 0x2d10becb
	.long	3977667932                      ; 0xed16655c
	.long	623718443                       ; 0x252d302b
	.long	2276396692                      ; 0x87af0e94
	.long	3772091798                      ; 0xe0d58d96
	;; [unrolled: 1-line block ×3, first 2 shown]
	.long	710314822                       ; 0x2a568b46
	.long	3733316262                      ; 0xde85e2a6
	.long	1497955597                      ; 0x5948fd0d
	.long	700242668                       ; 0x29bcdaec
	.long	757539371                       ; 0x2d27222b
	.long	1247731879                      ; 0x4a5ee0a7
	.long	336477088                       ; 0x140e3ba0
	.long	532374143                       ; 0x1fbb627f
	.long	1123157198                      ; 0x42f204ce
	.long	2374238409                      ; 0x8d8400c9
	.long	272472192                       ; 0x103d9880
	.long	2142741093                      ; 0x7fb7a265
	.long	2557920990                      ; 0x9876c6de
	;; [unrolled: 1-line block ×7, first 2 shown]
	.long	215335417                       ; 0xcd5c1f9
	.long	1267642920                      ; 0x4b8eb228
	.long	4267389372                      ; 0xfe5b31bc
	.long	94668579                        ; 0x5a48723
	.long	1980152960                      ; 0x7606bc80
	.long	968677393                       ; 0x39bcd811
	.long	2252616933                      ; 0x864434e5
	.long	63833646                        ; 0x3ce062e
	.long	2488747616                      ; 0x94574660
	.long	700459471                       ; 0x29c029cf
	.long	744977323                       ; 0x2c6773ab
	.long	2711054317                      ; 0xa19767ed
	.long	955400639                       ; 0x38f241bf
	.long	37187948                        ; 0x237716c
	.long	53133706                        ; 0x32ac18a
	.long	2014551043                      ; 0x78139c03
	.long	1664498234                      ; 0x63363a3a
	;; [unrolled: 1-line block ×6, first 2 shown]
	.long	496150741                       ; 0x1d92a8d5
	.long	2757636973                      ; 0xa45e336d
	.long	3590044052                      ; 0xd5fbb994
	;; [unrolled: 1-line block ×6, first 2 shown]
	.long	168718075                       ; 0xa0e6efb
	.long	2435805251                      ; 0x912f7043
	.long	588815465                       ; 0x23189c69
	.long	318307195                       ; 0x12f8fb7b
	.long	3164200096                      ; 0xbc99dca0
	.long	417809976                       ; 0x18e74638
	.long	623036767                       ; 0x2522c95f
	;; [unrolled: 1-line block ×3, first 2 shown]
	.long	3426055217                      ; 0xcc357431
	.long	56330125                        ; 0x35b878d
	.long	3268029211                      ; 0xc2ca2b1b
	.long	1117100306                      ; 0x42959912
	.long	345899179                       ; 0x149e00ab
	.long	979486044                       ; 0x3a61c55c
	.long	3657965225                      ; 0xda081ea9
	.long	4109701299                      ; 0xf4f510b3
	.long	664937685                       ; 0x27a224d5
	.long	2627187961                      ; 0x9c97b4f9
	.long	2747102301                      ; 0xa3bd745d
	.long	1764003230                      ; 0x69248d9e
	.long	3177910586                      ; 0xbd6b113a
	.long	3081492846                      ; 0xb7abd96e
	.long	2295419724                      ; 0x88d1534c
	.long	1088606857                      ; 0x40e2d289
	.long	1506534805                      ; 0x59cbe595
	.long	971284719                       ; 0x39e4a0ef
	.long	3224921758                      ; 0xc038669e
	.long	3336906843                      ; 0xc6e5285b
	.long	984983218                       ; 0x3ab5a6b2
	.long	1224379418                      ; 0x48fa8c1a
	.long	4117299702                      ; 0xf56901f6
	;; [unrolled: 1-line block ×7, first 2 shown]
	.long	459692505                       ; 0x1b6659d9
	.long	3546328518                      ; 0xd360adc6
	.long	2096978494                      ; 0x7cfd5a3e
	;; [unrolled: 1-line block ×5, first 2 shown]
	.long	99113127                        ; 0x5e858a7
	.long	972796497                       ; 0x39fbb251
	.long	1658649136                      ; 0x62dcfa30
	.long	1974081931                      ; 0x75aa198b
	;; [unrolled: 1-line block ×9, first 2 shown]
	.long	947968718                       ; 0x3880dace
	.long	2704347564                      ; 0xa13111ac
	.long	2300583688                      ; 0x89201f08
	.long	915286167                       ; 0x368e2897
	.long	1553874575                      ; 0x5c9e3e8f
	.long	2124709798                      ; 0x7ea47fa6
	.long	701000054                       ; 0x29c86976
	.long	349103195                       ; 0x14cee45b
	.long	1554395274                      ; 0x5ca6308a
	.long	3140941933                      ; 0xbb36f86d
	;; [unrolled: 1-line block ×5, first 2 shown]
	.long	321399291                       ; 0x132829fb
	.long	1158058020                      ; 0x45069024
	.long	4051601694                      ; 0xf17e891e
	.long	122802750                       ; 0x751d23e
	.long	3012686842                      ; 0xb391f3fa
	.long	2588402967                      ; 0x9a47e517
	;; [unrolled: 1-line block ×4, first 2 shown]
	.long	193235885                       ; 0xb848bad
	.long	1558092297                      ; 0x5cde9a09
	.long	1233353728                      ; 0x49837c00
	;; [unrolled: 1-line block ×10, first 2 shown]
	.long	922252155                       ; 0x36f8737b
	.long	569761460                       ; 0x21f5deb4
	.long	3215661310                      ; 0xbfab18fe
	.long	2869922986                      ; 0xab0f8caa
	.long	2491078689                      ; 0x947ad821
	.long	632504591                       ; 0x25b3410f
	.long	2169581755                      ; 0x815130bb
	.long	2552457727                      ; 0x982369ff
	;; [unrolled: 1-line block ×4, first 2 shown]
	.long	681756629                       ; 0x28a2c7d5
	.long	801451286                       ; 0x2fc52d16
	.long	3504956478                      ; 0xd0e9643e
	.long	3400676931                      ; 0xcab23643
	;; [unrolled: 1-line block ×7, first 2 shown]
	.long	570161747                       ; 0x21fbfa53
	.long	4246897171                      ; 0xfd228213
	.long	2217508286                      ; 0x842c7dbe
	;; [unrolled: 1-line block ×4, first 2 shown]
	.long	756072139                       ; 0x2d10becb
	.long	3977667932                      ; 0xed16655c
	.long	623718443                       ; 0x252d302b
	.long	2276396692                      ; 0x87af0e94
	.long	1340008665                      ; 0x4fdee8d9
	;; [unrolled: 1-line block ×3, first 2 shown]
	.long	710314822                       ; 0x2a568b46
	.long	3733316262                      ; 0xde85e2a6
	.long	1497955597                      ; 0x5948fd0d
	;; [unrolled: 1-line block ×3, first 2 shown]
	.long	757539371                       ; 0x2d27222b
	.long	1247731879                      ; 0x4a5ee0a7
	.long	336477088                       ; 0x140e3ba0
	.long	532374143                       ; 0x1fbb627f
	.long	2210327641                      ; 0x83beec59
	.long	2374238409                      ; 0x8d8400c9
	.long	272472192                       ; 0x103d9880
	.long	2142741093                      ; 0x7fb7a265
	.long	2557920990                      ; 0x9876c6de
	;; [unrolled: 1-line block ×7, first 2 shown]
	.long	499168780                       ; 0x1dc0b60c
	.long	1267642920                      ; 0x4b8eb228
	.long	4267389372                      ; 0xfe5b31bc
	.long	94668579                        ; 0x5a48723
	.long	1980152960                      ; 0x7606bc80
	.long	2695928666                      ; 0xa0b09b5a
	.long	2252616933                      ; 0x864434e5
	.long	63833646                        ; 0x3ce062e
	.long	2488747616                      ; 0x94574660
	.long	700459471                       ; 0x29c029cf
	.long	4181471443                      ; 0xf93c30d3
	.long	2711054317                      ; 0xa19767ed
	.long	955400639                       ; 0x38f241bf
	.long	37187948                        ; 0x237716c
	.long	53133706                        ; 0x32ac18a
	.long	441944403                       ; 0x1a578953
	.long	1664498234                      ; 0x63363a3a
	.long	3342787122                      ; 0xc73ee232
	.long	1549278321                      ; 0x5c581c71
	.long	1245110464                      ; 0x4a36e0c0
	.long	2271611585                      ; 0x87660ac1
	.long	496150741                       ; 0x1d92a8d5
	.long	2757636973                      ; 0xa45e336d
	.long	3590044052                      ; 0xd5fbb994
	;; [unrolled: 1-line block ×6, first 2 shown]
	.long	168718075                       ; 0xa0e6efb
	.long	2435805251                      ; 0x912f7043
	.long	734763537                       ; 0x2bcb9a11
	.long	318307195                       ; 0x12f8fb7b
	.long	3164200096                      ; 0xbc99dca0
	.long	417809976                       ; 0x18e74638
	.long	623036767                       ; 0x2522c95f
	.long	4002728646                      ; 0xee94cac6
	.long	3426055217                      ; 0xcc357431
	.long	56330125                        ; 0x35b878d
	.long	3268029211                      ; 0xc2ca2b1b
	.long	1117100306                      ; 0x42959912
	;; [unrolled: 1-line block ×3, first 2 shown]
	.long	979486044                       ; 0x3a61c55c
	.long	3657965225                      ; 0xda081ea9
	.long	4109701299                      ; 0xf4f510b3
	.long	664937685                       ; 0x27a224d5
	.long	815527474                       ; 0x309bf632
	.long	2747102301                      ; 0xa3bd745d
	.long	1764003230                      ; 0x69248d9e
	;; [unrolled: 1-line block ×4, first 2 shown]
	.long	63383766                        ; 0x3c728d6
	.long	1088606857                      ; 0x40e2d289
	.long	1506534805                      ; 0x59cbe595
	.long	971284719                       ; 0x39e4a0ef
	.long	3224921758                      ; 0xc038669e
	.long	2331024939                      ; 0x8af09e2b
	.long	984983218                       ; 0x3ab5a6b2
	.long	1224379418                      ; 0x48fa8c1a
	.long	4117299702                      ; 0xf56901f6
	;; [unrolled: 1-line block ×7, first 2 shown]
	.long	459692505                       ; 0x1b6659d9
	.long	2582830990                      ; 0x99f2df8e
	.long	2096978494                      ; 0x7cfd5a3e
	;; [unrolled: 1-line block ×5, first 2 shown]
	.long	321154403                       ; 0x13246d63
	.long	972796497                       ; 0x39fbb251
	.long	1658649136                      ; 0x62dcfa30
	.long	1974081931                      ; 0x75aa198b
	;; [unrolled: 1-line block ×9, first 2 shown]
	.long	947968718                       ; 0x3880dace
	.long	2704347564                      ; 0xa13111ac
	.long	2300583688                      ; 0x89201f08
	.long	915286167                       ; 0x368e2897
	.long	474021937                       ; 0x1c410031
	.long	2124709798                      ; 0x7ea47fa6
	.long	701000054                       ; 0x29c86976
	.long	349103195                       ; 0x14cee45b
	.long	1554395274                      ; 0x5ca6308a
	.long	702752814                       ; 0x29e3282e
	.long	2569019225                      ; 0x99201f59
	.long	2630572105                      ; 0x9ccb5849
	;; [unrolled: 1-line block ×3, first 2 shown]
	.long	321399291                       ; 0x132829fb
	.long	2406346046                      ; 0x8f6ded3e
	.long	4051601694                      ; 0xf17e891e
	.long	122802750                       ; 0x751d23e
	.long	3012686842                      ; 0xb391f3fa
	.long	2588402967                      ; 0x9a47e517
	;; [unrolled: 1-line block ×4, first 2 shown]
	.long	193235885                       ; 0xb848bad
	.long	1558092297                      ; 0x5cde9a09
	.long	1233353728                      ; 0x49837c00
	;; [unrolled: 1-line block ×10, first 2 shown]
	.long	922252155                       ; 0x36f8737b
	.long	569761460                       ; 0x21f5deb4
	.long	3384000986                      ; 0xc9b3c1da
	.long	2869922986                      ; 0xab0f8caa
	;; [unrolled: 1-line block ×3, first 2 shown]
	.long	632504591                       ; 0x25b3410f
	.long	2169581755                      ; 0x815130bb
	.long	3451609034                      ; 0xcdbb5fca
	;; [unrolled: 1-line block ×4, first 2 shown]
	.long	681756629                       ; 0x28a2c7d5
	.long	801451286                       ; 0x2fc52d16
	.long	2643408064                      ; 0x9d8f34c0
	.long	3400676931                      ; 0xcab23643
	;; [unrolled: 1-line block ×7, first 2 shown]
	.long	570161747                       ; 0x21fbfa53
	.long	4246897171                      ; 0xfd228213
	.long	2217508286                      ; 0x842c7dbe
	;; [unrolled: 1-line block ×4, first 2 shown]
	.long	756072139                       ; 0x2d10becb
	.long	3977667932                      ; 0xed16655c
	.long	623718443                       ; 0x252d302b
	.long	3792539489                      ; 0xe20d8f61
	.long	1340008665                      ; 0x4fdee8d9
	;; [unrolled: 1-line block ×3, first 2 shown]
	.long	710314822                       ; 0x2a568b46
	.long	3733316262                      ; 0xde85e2a6
	.long	876419217                       ; 0x343d1891
	.long	2098292377                      ; 0x7d116699
	;; [unrolled: 2-line block ×4, first 2 shown]
	.long	2210327641                      ; 0x83beec59
	.long	2374238409                      ; 0x8d8400c9
	.long	272472192                       ; 0x103d9880
	.long	2142741093                      ; 0x7fb7a265
	.long	4142392723                      ; 0xf6e7e593
	;; [unrolled: 1-line block ×7, first 2 shown]
	.long	499168780                       ; 0x1dc0b60c
	.long	1267642920                      ; 0x4b8eb228
	.long	4267389372                      ; 0xfe5b31bc
	.long	94668579                        ; 0x5a48723
	.long	1177286958                      ; 0x462bf92e
	.long	2695928666                      ; 0xa0b09b5a
	;; [unrolled: 1-line block ×3, first 2 shown]
	.long	63833646                        ; 0x3ce062e
	.long	2488747616                      ; 0x94574660
	.long	3571573975                      ; 0xd4e1e4d7
	;; [unrolled: 1-line block ×4, first 2 shown]
	.long	955400639                       ; 0x38f241bf
	.long	37187948                        ; 0x237716c
	.long	1485050393                      ; 0x58841219
	.long	441944403                       ; 0x1a578953
	.long	1664498234                      ; 0x63363a3a
	.long	3342787122                      ; 0xc73ee232
	;; [unrolled: 1-line block ×3, first 2 shown]
	.long	518707274                       ; 0x1eead84a
	.long	2271611585                      ; 0x87660ac1
	.long	496150741                       ; 0x1d92a8d5
	.long	2757636973                      ; 0xa45e336d
	.long	3590044052                      ; 0xd5fbb994
	.long	305206687                       ; 0x1231159f
	.long	3009817799                      ; 0xb3662cc7
	.long	2066534443                      ; 0x7b2cd02b
	;; [unrolled: 1-line block ×3, first 2 shown]
	.long	168718075                       ; 0xa0e6efb
	.long	1914032206                      ; 0x7215d04e
	.long	734763537                       ; 0x2bcb9a11
	.long	318307195                       ; 0x12f8fb7b
	.long	3164200096                      ; 0xbc99dca0
	.long	417809976                       ; 0x18e74638
	.long	2062496275                      ; 0x7aef3213
	.long	4002728646                      ; 0xee94cac6
	;; [unrolled: 1-line block ×3, first 2 shown]
	.long	56330125                        ; 0x35b878d
	.long	3268029211                      ; 0xc2ca2b1b
	.long	1878869053                      ; 0x6ffd443d
	.long	1435987728                      ; 0x55976f10
	.long	979486044                       ; 0x3a61c55c
	.long	3657965225                      ; 0xda081ea9
	.long	4109701299                      ; 0xf4f510b3
	.long	1558853775                      ; 0x5cea388f
	.long	815527474                       ; 0x309bf632
	;; [unrolled: 4-line block ×3, first 2 shown]
	.long	63383766                        ; 0x3c728d6
	.long	1088606857                      ; 0x40e2d289
	.long	1506534805                      ; 0x59cbe595
	.long	971284719                       ; 0x39e4a0ef
	.long	2546285777                      ; 0x97c53cd1
	.long	2331024939                      ; 0x8af09e2b
	.long	984983218                       ; 0x3ab5a6b2
	;; [unrolled: 3-line block ×3, first 2 shown]
	.long	3998070267                      ; 0xee4db5fb
	.long	1044785427                      ; 0x3e462913
	;; [unrolled: 1-line block ×10, first 2 shown]
	.long	321154403                       ; 0x13246d63
	.long	972796497                       ; 0x39fbb251
	.long	1658649136                      ; 0x62dcfa30
	.long	1974081931                      ; 0x75aa198b
	;; [unrolled: 1-line block ×7, first 2 shown]
	.long	477866180                       ; 0x1c7ba8c4
	.long	3440681546                      ; 0xcd14a24a
	.long	947968718                       ; 0x3880dace
	.long	2704347564                      ; 0xa13111ac
	.long	2300583688                      ; 0x89201f08
	.long	56071603                        ; 0x35795b3
	.long	474021937                       ; 0x1c410031
	.long	2124709798                      ; 0x7ea47fa6
	.long	701000054                       ; 0x29c86976
	.long	349103195                       ; 0x14cee45b
	.long	2431577249                      ; 0x90eeeca1
	.long	702752814                       ; 0x29e3282e
	.long	2569019225                      ; 0x99201f59
	.long	2630572105                      ; 0x9ccb5849
	;; [unrolled: 1-line block ×3, first 2 shown]
	.long	211758134                       ; 0xc9f2c36
	.long	2406346046                      ; 0x8f6ded3e
	.long	4051601694                      ; 0xf17e891e
	.long	122802750                       ; 0x751d23e
	.long	3012686842                      ; 0xb391f3fa
	.long	2470642374                      ; 0x934302c6
	;; [unrolled: 1-line block ×4, first 2 shown]
	.long	193235885                       ; 0xb848bad
	.long	1558092297                      ; 0x5cde9a09
	.long	852353933                       ; 0x32cde38d
	.long	3935919190                      ; 0xea995c56
	.long	1527068788                      ; 0x5b053874
	;; [unrolled: 1-line block ×4, first 2 shown]
	.long	543290606                       ; 0x2061f4ee
	.long	1722541048                      ; 0x66abe3f8
	.long	1543089352                      ; 0x5bf9acc8
	.long	1079741964                      ; 0x405b8e0c
	.long	922252155                       ; 0x36f8737b
	.long	1146820965                      ; 0x445b1965
	.long	3384000986                      ; 0xc9b3c1da
	.long	2869922986                      ; 0xab0f8caa
	.long	2491078689                      ; 0x947ad821
	.long	632504591                       ; 0x25b3410f
	.long	2936494996                      ; 0xaf075b94
	;; [unrolled: 5-line block ×3, first 2 shown]
	.long	2643408064                      ; 0x9d8f34c0
	.long	3400676931                      ; 0xcab23643
	;; [unrolled: 1-line block ×5, first 2 shown]
	.long	304167301                       ; 0x12213985
	.long	3073812276                      ; 0xb736a734
	.long	1253385329                      ; 0x4ab52471
	.long	801639697                       ; 0x2fc80d11
	.long	1346336854                      ; 0x503f7856
	.long	3880416830                      ; 0xe74a763e
	;; [unrolled: 1-line block ×8, first 2 shown]
	.long	310054807                       ; 0x127b0f97
	.long	3350133555                      ; 0xc7aefb33
	.long	800839525                       ; 0x2fbbd765
	.long	3435579932                      ; 0xccc6ca1c
	.long	2120216654                      ; 0x7e5ff04e
	.long	407780291                       ; 0x184e3bc3
	.long	1228117799                      ; 0x49339727
	.long	513334510                       ; 0x1e98dcee
	.long	1423091447                      ; 0x54d2a6f7
	.long	3698882838                      ; 0xdc787916
	.long	2556406643                      ; 0x985fab73
	.long	1536483608                      ; 0x5b94e118
	.long	998695315                       ; 0x3b86e193
	.long	1619514015                      ; 0x6087d29f
	.long	4197375975                      ; 0xfa2edfe7
	.long	892985909                       ; 0x3539e235
	.long	993665758                       ; 0x3b3a22de
	.long	4160405430                      ; 0xf7fabfb6
	.long	2379977763                      ; 0x8ddb9423
	;; [unrolled: 1-line block ×4, first 2 shown]
	.long	479280944                       ; 0x1c913f30
	.long	3611297256                      ; 0xd74005e8
	.long	3481820363                      ; 0xcf885ccb
	;; [unrolled: 1-line block ×3, first 2 shown]
	.long	455298115                       ; 0x1b234c43
	.long	3955764756                      ; 0xebc82e14
	.long	2406161837                      ; 0x8f6b1dad
	.long	185873336                       ; 0xb1433b8
	.long	3382956716                      ; 0xc9a3d2ac
	.long	3556168427                      ; 0xd3f6d2eb
	;; [unrolled: 1-line block ×7, first 2 shown]
	.long	290755159                       ; 0x11549257
	.long	2845168299                      ; 0xa995d2ab
	.long	3301422441                      ; 0xc4c7b569
	;; [unrolled: 1-line block ×3, first 2 shown]
	.long	491352430                       ; 0x1d49716e
	.long	2461746382                      ; 0x92bb44ce
	.long	1591975949                      ; 0x5ee3a00d
	.long	604909111                       ; 0x240e2e37
	.long	3595669760                      ; 0xd6519100
	.long	4079314041                      ; 0xf3256479
	.long	258321046                       ; 0xf65aa96
	.long	1352583874                      ; 0x509ecac2
	.long	999018951                       ; 0x3b8bd1c7
	.long	3150079914                      ; 0xbbc267aa
	.long	113122510                       ; 0x6be1cce
	.long	743303046                       ; 0x2c4de786
	.long	3205496412                      ; 0xbf0ffe5c
	.long	4267738054                      ; 0xfe6083c6
	;; [unrolled: 1-line block ×8, first 2 shown]
	.long	732694221                       ; 0x2bac06cd
	.long	2052988791                      ; 0x7a5e1f77
	.long	1759288229                      ; 0x68dc9ba5
	;; [unrolled: 1-line block ×5, first 2 shown]
	.long	666443657                       ; 0x27b91f89
	.long	419482443                       ; 0x1900cb4b
	.long	2877435004                      ; 0xab822c7c
	.long	2944696351                      ; 0xaf84801f
	;; [unrolled: 1-line block ×3, first 2 shown]
	.long	301119182                       ; 0x11f2b6ce
	.long	998264713                       ; 0x3b804f89
	.long	2314419254                      ; 0x89f33c36
	.long	3610447393                      ; 0xd7330e21
	;; [unrolled: 1-line block ×5, first 2 shown]
	.long	384633091                       ; 0x16ed0903
	.long	4056367270                      ; 0xf1c740a6
	.long	2348418835                      ; 0x8bfa0713
	;; [unrolled: 1-line block ×4, first 2 shown]
	.long	804929680                       ; 0x2ffa4090
	.long	1511023454                      ; 0x5a10635e
	.long	3915948102                      ; 0xe968a046
	;; [unrolled: 1-line block ×4, first 2 shown]
	.long	130122933                       ; 0x7c184b5
	.long	2030859646                      ; 0x790c757e
	.long	3730011315                      ; 0xde5374b3
	.long	118408868                       ; 0x70ec6a4
	.long	632704878                       ; 0x25b64f6e
	.long	3559959612                      ; 0xd430ac3c
	.long	2926361713                      ; 0xae6cbc71
	;; [unrolled: 1-line block ×3, first 2 shown]
	.long	599210027                       ; 0x23b7382b
	.long	2315051975                      ; 0x89fce3c7
	.long	157809758                       ; 0x967fc5e
	.long	1148939942                      ; 0x447b6ea6
	.long	3060024350                      ; 0xb664441e
	;; [unrolled: 1-line block ×8, first 2 shown]
	.long	130581501                       ; 0x7c883fd
	.long	1844026536                      ; 0x6de99ca8
	.long	2661594012                      ; 0x9ea4b39c
	;; [unrolled: 1-line block ×7, first 2 shown]
	.long	740167863                       ; 0x2c1e10b7
	.long	226231218                       ; 0xd7c03b2
	.long	2631972701                      ; 0x9ce0b75d
	.long	2148020402                      ; 0x800830b2
	;; [unrolled: 1-line block ×4, first 2 shown]
	.long	30872114                        ; 0x1d71232
	.long	1342415612                      ; 0x5003a2fc
	.long	1071408471                      ; 0x3fdc6557
	;; [unrolled: 1-line block ×3, first 2 shown]
	.long	332346805                       ; 0x13cf35b5
	.long	1473336719                      ; 0x57d1558f
	.long	4207932404                      ; 0xfacff3f4
	;; [unrolled: 1-line block ×6, first 2 shown]
	.long	13931822                        ; 0xd4952e
	.long	1150258251                      ; 0x448f8c4b
	.long	2369539473                      ; 0x8d3c4d91
	.long	640926011                       ; 0x2633c13b
	.long	2991135002                      ; 0xb249191a
	.long	2410382633                      ; 0x8fab8529
	.long	548200125                       ; 0x20acdebd
	.long	3977740663                      ; 0xed178177
	.long	1245837867                      ; 0x4a41fa2b
	;; [unrolled: 1-line block ×5, first 2 shown]
	.long	214387770                       ; 0xcc74c3a
	.long	3329587833                      ; 0xc6757a79
	.long	281635893                       ; 0x10c96c35
	.long	1720103319                      ; 0x6686b197
	.long	2201367526                      ; 0x833633e6
	;; [unrolled: 1-line block ×6, first 2 shown]
	.long	653121934                       ; 0x26edd98e
	.long	2766514657                      ; 0xa4e5a9e1
	.long	765921436                       ; 0x2da7089c
	.long	630082485                       ; 0x258e4bb5
	.long	2990883045                      ; 0xb24540e5
	.long	3304472999                      ; 0xc4f641a7
	.long	471385134                       ; 0x1c18c42e
	.long	4097977544                      ; 0xf4422cc8
	.long	3749829028                      ; 0xdf81d9a4
	;; [unrolled: 1-line block ×4, first 2 shown]
	.long	800061060                       ; 0x2faff684
	.long	2844220510                      ; 0xa9875c5e
	.long	389838005                       ; 0x173c74b5
	.long	3681318140                      ; 0xdb6c74fc
	.long	1515923235                      ; 0x5a5b2723
	;; [unrolled: 1-line block ×3, first 2 shown]
	.long	713031018                       ; 0x2a7ffd6a
	.long	1962734763                      ; 0x74fcf4ab
	.long	2288160004                      ; 0x88628d04
	;; [unrolled: 1-line block ×8, first 2 shown]
	.long	701313302                       ; 0x29cd3116
	.long	1118275019                      ; 0x42a785cb
	.long	3118975645                      ; 0xb9e7ca9d
	.long	4153969630                      ; 0xf7988bde
	.long	3516491181                      ; 0xd19965ad
	.long	3601057044                      ; 0xd6a3c514
	.long	2509222288                      ; 0x958fb190
	.long	223064937                       ; 0xd4bb369
	.long	899123842                       ; 0x35978a82
	.long	2574531231                      ; 0x99743a9f
	.long	1386928111                      ; 0x52aad7ef
	;; [unrolled: 1-line block ×11, first 2 shown]
	.long	47128429                        ; 0x2cf1f6d
	.long	2977525950                      ; 0xb17970be
	.long	3236389548                      ; 0xc0e762ac
	;; [unrolled: 1-line block ×5, first 2 shown]
	.long	721111284                       ; 0x2afb48f4
	.long	331726226                       ; 0x13c5bd92
	.long	68419013                        ; 0x413fdc5
	.long	2575393464                      ; 0x998162b8
	.long	3648293304                      ; 0xd97489b8
	;; [unrolled: 1-line block ×16, first 2 shown]
	.long	246689858                       ; 0xeb43042
	.long	2946177636                      ; 0xaf9b1a64
	.long	1677728066                      ; 0x64001942
	;; [unrolled: 1-line block ×8, first 2 shown]
	.long	849872082                       ; 0x32a804d2
	.long	3527265600                      ; 0xd23dcd40
	.long	1443266215                      ; 0x56067ea7
	;; [unrolled: 1-line block ×3, first 2 shown]
	.long	458373857                       ; 0x1b523ae1
	.long	3862342513                      ; 0xe636ab71
	.long	699597603                       ; 0x29b30323
	.long	685707268                       ; 0x28df1004
	.long	948502001                       ; 0x3888fdf1
	.long	2501058653                      ; 0x9513205d
	.long	2254562046                      ; 0x8661e2fe
	;; [unrolled: 1-line block ×3, first 2 shown]
	.long	29088679                        ; 0x1bbdba7
	.long	1456231200                      ; 0x56cc5320
	.long	2764392560                      ; 0xa4c54870
	;; [unrolled: 1-line block ×8, first 2 shown]
	.long	652852832                       ; 0x26e9be60
	.long	2211671337                      ; 0x83d36d29
	.long	2231125160                      ; 0x84fc44a8
	.long	131729558                       ; 0x7da0896
	.long	3845605816                      ; 0xe53749b8
	.long	3769660625                      ; 0xe0b074d1
	;; [unrolled: 1-line block ×3, first 2 shown]
	.long	728353643                       ; 0x2b69cb6b
	.long	2751201502                      ; 0xa3fc00de
	.long	3496971733                      ; 0xd06f8dd5
	;; [unrolled: 1-line block ×9, first 2 shown]
	.long	833983349                       ; 0x31b59375
	.long	2600153513                      ; 0x9afb31a9
	.long	1677348112                      ; 0x63fa4d10
	.long	207321473                       ; 0xc5b7981
	.long	1051990507                      ; 0x3eb419eb
	.long	2135039620                      ; 0x7f421e84
	;; [unrolled: 1-line block ×6, first 2 shown]
	.long	112704720                       ; 0x6b7bcd0
	.long	2506523299                      ; 0x956682a3
	.long	2827487353                      ; 0xa8880879
	;; [unrolled: 1-line block ×10, first 2 shown]
	.long	800302547                       ; 0x2fb3a5d3
	.long	3602066837                      ; 0xd6b32d95
	.long	975658158                       ; 0x3a275cae
	.long	2880018391                      ; 0xaba997d7
	;; [unrolled: 2-line block ×3, first 2 shown]
	.long	2351365577                      ; 0x8c26fdc9
	.long	2811011071                      ; 0xa78c9fff
	.long	3505407160                      ; 0xd0f044b8
	.long	54109504                        ; 0x339a540
	.long	424967367                       ; 0x19547cc7
	.long	3759525737                      ; 0xe015cf69
	.long	1726627246                      ; 0x66ea3dae
	;; [unrolled: 1-line block ×11, first 2 shown]
	.long	653121934                       ; 0x26edd98e
	.long	2766514657                      ; 0xa4e5a9e1
	.long	765921436                       ; 0x2da7089c
	.long	3794433488                      ; 0xe22a75d0
	.long	2990883045                      ; 0xb24540e5
	;; [unrolled: 1-line block ×3, first 2 shown]
	.long	471385134                       ; 0x1c18c42e
	.long	4097977544                      ; 0xf4422cc8
	.long	3618516788                      ; 0xd7ae2f34
	;; [unrolled: 1-line block ×4, first 2 shown]
	.long	800061060                       ; 0x2faff684
	.long	2844220510                      ; 0xa9875c5e
	.long	2319780070                      ; 0x8a4508e6
	;; [unrolled: 1-line block ×5, first 2 shown]
	.long	713031018                       ; 0x2a7ffd6a
	.long	11705290                        ; 0xb29bca
	.long	2288160004                      ; 0x88628d04
	.long	1983331336                      ; 0x76373c08
	;; [unrolled: 1-line block ×7, first 2 shown]
	.long	701313302                       ; 0x29cd3116
	.long	1118275019                      ; 0x42a785cb
	.long	1430522809                      ; 0x55440bb9
	;; [unrolled: 1-line block ×7, first 2 shown]
	.long	899123842                       ; 0x35978a82
	.long	2574531231                      ; 0x99743a9f
	.long	1386928111                      ; 0x52aad7ef
	;; [unrolled: 1-line block ×8, first 2 shown]
	.long	671522957                       ; 0x2806a08d
	.long	3862995487                      ; 0xe640a21f
	.long	3118056386                      ; 0xb9d9c3c2
	.long	47128429                        ; 0x2cf1f6d
	.long	2977525950                      ; 0xb17970be
	.long	2762831063                      ; 0xa4ad74d7
	;; [unrolled: 1-line block ×5, first 2 shown]
	.long	721111284                       ; 0x2afb48f4
	.long	1386688457                      ; 0x52a72fc9
	.long	68419013                        ; 0x413fdc5
	.long	2575393464                      ; 0x998162b8
	.long	3648293304                      ; 0xd97489b8
	;; [unrolled: 1-line block ×3, first 2 shown]
	.long	466405406                       ; 0x1bccc81e
	.long	3696899986                      ; 0xdc5a3792
	.long	1270877069                      ; 0x4bc00b8d
	;; [unrolled: 1-line block ×4, first 2 shown]
	.long	94103836                        ; 0x59be91c
	.long	2767482392                      ; 0xa4f46e18
	.long	3549853842                      ; 0xd3967892
	.long	2353191576                      ; 0x8c42da98
	.long	3353325530                      ; 0xc7dfafda
	.long	349361794                       ; 0x14d2d682
	.long	2689121900                      ; 0xa048be6c
	.long	2335686695                      ; 0x8b37c027
	.long	246689858                       ; 0xeb43042
	.long	2946177636                      ; 0xaf9b1a64
	.long	3232050945                      ; 0xc0a52f01
	;; [unrolled: 1-line block ×6, first 2 shown]
	.long	542837628                       ; 0x205b0b7c
	.long	1575502035                      ; 0x5de840d3
	.long	849872082                       ; 0x32a804d2
	.long	3527265600                      ; 0xd23dcd40
	.long	1443266215                      ; 0x56067ea7
	;; [unrolled: 1-line block ×3, first 2 shown]
	.long	458373857                       ; 0x1b523ae1
	.long	3862342513                      ; 0xe636ab71
	.long	699597603                       ; 0x29b30323
	.long	685707268                       ; 0x28df1004
	.long	4210562190                      ; 0xfaf8148e
	.long	2501058653                      ; 0x9513205d
	;; [unrolled: 1-line block ×4, first 2 shown]
	.long	29088679                        ; 0x1bbdba7
	.long	3647972960                      ; 0xd96fa660
	.long	2764392560                      ; 0xa4c54870
	.long	4138068372                      ; 0xf6a5e994
	.long	3094591474                      ; 0xb873b7f2
	.long	1093749152                      ; 0x413149a0
	.long	312511475                       ; 0x12a08bf3
	.long	3133003149                      ; 0xbabdd58d
	.long	4128702884                      ; 0xf61701a4
	.long	652852832                       ; 0x26e9be60
	.long	2211671337                      ; 0x83d36d29
	.long	145492343                       ; 0x8ac0977
	.long	131729558                       ; 0x7da0896
	.long	3845605816                      ; 0xe53749b8
	.long	3769660625                      ; 0xe0b074d1
	;; [unrolled: 1-line block ×16, first 2 shown]
	.long	207321473                       ; 0xc5b7981
	.long	1051990507                      ; 0x3eb419eb
	.long	3349078950                      ; 0xc79ee3a6
	;; [unrolled: 1-line block ×11, first 2 shown]
	.long	445467699                       ; 0x1a8d4c33
	.long	1014850621                      ; 0x3c7d643d
	.long	3662772872                      ; 0xda517a88
	;; [unrolled: 1-line block ×5, first 2 shown]
	.long	800302547                       ; 0x2fb3a5d3
	.long	3602066837                      ; 0xd6b32d95
	.long	975658158                       ; 0x3a275cae
	.long	2880018391                      ; 0xaba997d7
	.long	1553758240                      ; 0x5c9c7820
	;; [unrolled: 1-line block ×7, first 2 shown]
	.long	424967367                       ; 0x19547cc7
	.long	3759525737                      ; 0xe015cf69
	.long	1726627246                      ; 0x66ea3dae
	;; [unrolled: 1-line block ×11, first 2 shown]
	.long	653121934                       ; 0x26edd98e
	.long	2766514657                      ; 0xa4e5a9e1
	.long	526940162                       ; 0x1f687802
	.long	3794433488                      ; 0xe22a75d0
	.long	2990883045                      ; 0xb24540e5
	;; [unrolled: 1-line block ×3, first 2 shown]
	.long	471385134                       ; 0x1c18c42e
	.long	594057325                       ; 0x2368986d
	.long	3618516788                      ; 0xd7ae2f34
	.long	3587534772                      ; 0xd5d56fb4
	;; [unrolled: 1-line block ×3, first 2 shown]
	.long	800061060                       ; 0x2faff684
	.long	1001523010                      ; 0x3bb20742
	.long	2319780070                      ; 0x8a4508e6
	;; [unrolled: 1-line block ×5, first 2 shown]
	.long	255576756                       ; 0xf3bcab4
	.long	11705290                        ; 0xb29bca
	.long	2288160004                      ; 0x88628d04
	.long	1983331336                      ; 0x76373c08
	;; [unrolled: 1-line block ×7, first 2 shown]
	.long	701313302                       ; 0x29cd3116
	.long	524281295                       ; 0x1f3fe5cf
	.long	1430522809                      ; 0x55440bb9
	.long	4153969630                      ; 0xf7988bde
	;; [unrolled: 1-line block ×6, first 2 shown]
	.long	899123842                       ; 0x35978a82
	.long	2574531231                      ; 0x99743a9f
	.long	1386928111                      ; 0x52aad7ef
	;; [unrolled: 1-line block ×8, first 2 shown]
	.long	671522957                       ; 0x2806a08d
	.long	3862995487                      ; 0xe640a21f
	.long	3118056386                      ; 0xb9d9c3c2
	.long	47128429                        ; 0x2cf1f6d
	.long	1718476461                      ; 0x666ddead
	.long	2762831063                      ; 0xa4ad74d7
	;; [unrolled: 1-line block ×5, first 2 shown]
	.long	176166283                       ; 0xa80158b
	.long	1386688457                      ; 0x52a72fc9
	.long	68419013                        ; 0x413fdc5
	.long	2575393464                      ; 0x998162b8
	.long	3648293304                      ; 0xd97489b8
	;; [unrolled: 1-line block ×3, first 2 shown]
	.long	466405406                       ; 0x1bccc81e
	.long	3696899986                      ; 0xdc5a3792
	.long	1270877069                      ; 0x4bc00b8d
	;; [unrolled: 1-line block ×4, first 2 shown]
	.long	94103836                        ; 0x59be91c
	.long	2767482392                      ; 0xa4f46e18
	.long	3549853842                      ; 0xd3967892
	;; [unrolled: 1-line block ×4, first 2 shown]
	.long	349361794                       ; 0x14d2d682
	.long	2689121900                      ; 0xa048be6c
	.long	2335686695                      ; 0x8b37c027
	.long	246689858                       ; 0xeb43042
	.long	1246040634                      ; 0x4a45123a
	.long	3232050945                      ; 0xc0a52f01
	;; [unrolled: 1-line block ×6, first 2 shown]
	.long	542837628                       ; 0x205b0b7c
	.long	1575502035                      ; 0x5de840d3
	.long	849872082                       ; 0x32a804d2
	.long	3527265600                      ; 0xd23dcd40
	.long	1836050084                      ; 0x6d6fe6a4
	;; [unrolled: 1-line block ×3, first 2 shown]
	.long	458373857                       ; 0x1b523ae1
	.long	3862342513                      ; 0xe636ab71
	.long	699597603                       ; 0x29b30323
	.long	3139537113                      ; 0xbb2188d9
	.long	4210562190                      ; 0xfaf8148e
	;; [unrolled: 1-line block ×11, first 2 shown]
	.long	312511475                       ; 0x12a08bf3
	.long	3133003149                      ; 0xbabdd58d
	.long	4128702884                      ; 0xf61701a4
	.long	652852832                       ; 0x26e9be60
	.long	1658020144                      ; 0x62d36130
	.long	145492343                       ; 0x8ac0977
	.long	131729558                       ; 0x7da0896
	.long	3845605816                      ; 0xe53749b8
	.long	3769660625                      ; 0xe0b074d1
	;; [unrolled: 1-line block ×16, first 2 shown]
	.long	207321473                       ; 0xc5b7981
	.long	3169983987                      ; 0xbcf21df3
	.long	3349078950                      ; 0xc79ee3a6
	;; [unrolled: 1-line block ×11, first 2 shown]
	.long	445467699                       ; 0x1a8d4c33
	.long	1014850621                      ; 0x3c7d643d
	.long	3662772872                      ; 0xda517a88
	;; [unrolled: 1-line block ×3, first 2 shown]
	.long	340210579                       ; 0x14473393
	.long	3738518624                      ; 0xded54460
	.long	800302547                       ; 0x2fb3a5d3
	.long	3602066837                      ; 0xd6b32d95
	;; [unrolled: 2-line block ×3, first 2 shown]
	.long	1553758240                      ; 0x5c9c7820
	.long	2696483406                      ; 0xa0b9124e
	;; [unrolled: 1-line block ×6, first 2 shown]
	.long	424967367                       ; 0x19547cc7
	.long	3759525737                      ; 0xe015cf69
	.long	1726627246                      ; 0x66ea3dae
	;; [unrolled: 1-line block ×11, first 2 shown]
	.long	653121934                       ; 0x26edd98e
	.long	1756183481                      ; 0x68ad3bb9
	.long	526940162                       ; 0x1f687802
	.long	3794433488                      ; 0xe22a75d0
	.long	2990883045                      ; 0xb24540e5
	;; [unrolled: 1-line block ×4, first 2 shown]
	.long	594057325                       ; 0x2368986d
	.long	3618516788                      ; 0xd7ae2f34
	.long	3587534772                      ; 0xd5d56fb4
	;; [unrolled: 1-line block ×9, first 2 shown]
	.long	255576756                       ; 0xf3bcab4
	.long	11705290                        ; 0xb29bca
	.long	2288160004                      ; 0x88628d04
	.long	1983331336                      ; 0x76373c08
	.long	956739400                       ; 0x3906af48
	.long	1108575113                      ; 0x42138389
	.long	2508892029                      ; 0x958aa77d
	;; [unrolled: 1-line block ×4, first 2 shown]
	.long	142273913                       ; 0x87aed79
	.long	524281295                       ; 0x1f3fe5cf
	.long	1430522809                      ; 0x55440bb9
	.long	4153969630                      ; 0xf7988bde
	;; [unrolled: 1-line block ×3, first 2 shown]
	.long	986032639                       ; 0x3ac5a9ff
	.long	1816283752                      ; 0x6c424a68
	.long	1917025539                      ; 0x72437d03
	.long	899123842                       ; 0x35978a82
	.long	2574531231                      ; 0x99743a9f
	.long	1508271110                      ; 0x59e66406
	;; [unrolled: 1-line block ×6, first 2 shown]
	.long	458417668                       ; 0x1b52e604
	.long	1855689726                      ; 0x6e9b93fe
	.long	671522957                       ; 0x2806a08d
	.long	3862995487                      ; 0xe640a21f
	.long	3118056386                      ; 0xb9d9c3c2
	.long	284266432                       ; 0x10f18fc0
	.long	1718476461                      ; 0x666ddead
	.long	2762831063                      ; 0xa4ad74d7
	;; [unrolled: 1-line block ×5, first 2 shown]
	.long	176166283                       ; 0xa80158b
	.long	1386688457                      ; 0x52a72fc9
	.long	68419013                        ; 0x413fdc5
	.long	2575393464                      ; 0x998162b8
	.long	3650747541                      ; 0xd999fc95
	;; [unrolled: 1-line block ×3, first 2 shown]
	.long	466405406                       ; 0x1bccc81e
	.long	3696899986                      ; 0xdc5a3792
	.long	1270877069                      ; 0x4bc00b8d
	.long	678590674                       ; 0x287278d2
	.long	1645545933                      ; 0x621509cd
	.long	94103836                        ; 0x59be91c
	.long	2767482392                      ; 0xa4f46e18
	.long	3549853842                      ; 0xd3967892
	.long	398179945                       ; 0x17bbbe69
	.long	4163887784                      ; 0xf82fe2a8
	.long	349361794                       ; 0x14d2d682
	.long	2689121900                      ; 0xa048be6c
	.long	2335686695                      ; 0x8b37c027
	;; [unrolled: 1-line block ×9, first 2 shown]
	.long	542837628                       ; 0x205b0b7c
	.long	1575502035                      ; 0x5de840d3
	.long	849872082                       ; 0x32a804d2
	.long	2061659800                      ; 0x7ae26e98
	.long	1836050084                      ; 0x6d6fe6a4
	;; [unrolled: 1-line block ×3, first 2 shown]
	.long	458373857                       ; 0x1b523ae1
	.long	3862342513                      ; 0xe636ab71
	.long	730568629                       ; 0x2b8b97b5
	.long	3139537113                      ; 0xbb2188d9
	.long	4210562190                      ; 0xfaf8148e
	;; [unrolled: 1-line block ×4, first 2 shown]
	.long	449510786                       ; 0x1acafd82
	.long	3997617191                      ; 0xee46cc27
	.long	3647972960                      ; 0xd96fa660
	.long	2764392560                      ; 0xa4c54870
	.long	4138068372                      ; 0xf6a5e994
	.long	1939679536                      ; 0x739d2930
	.long	2664795910                      ; 0x9ed58f06
	.long	312511475                       ; 0x12a08bf3
	.long	3133003149                      ; 0xbabdd58d
	.long	4128702884                      ; 0xf61701a4
	;; [unrolled: 1-line block ×4, first 2 shown]
	.long	145492343                       ; 0x8ac0977
	.long	131729558                       ; 0x7da0896
	.long	3845605816                      ; 0xe53749b8
	.long	3235632110                      ; 0xc0dbd3ee
	;; [unrolled: 1-line block ×28, first 2 shown]
	.long	445467699                       ; 0x1a8d4c33
	.long	1014850621                      ; 0x3c7d643d
	.long	3662772872                      ; 0xda517a88
	;; [unrolled: 1-line block ×3, first 2 shown]
	.long	340210579                       ; 0x14473393
	.long	3738518624                      ; 0xded54460
	.long	800302547                       ; 0x2fb3a5d3
	.long	3602066837                      ; 0xd6b32d95
	.long	2264692610                      ; 0x86fc7782
	;; [unrolled: 1-line block ×9, first 2 shown]
	.long	424967367                       ; 0x19547cc7
	.long	3759525737                      ; 0xe015cf69
	.long	70326173                        ; 0x431179d
	.long	3028074555                      ; 0xb47cc03b
	.long	2568586198                      ; 0x991983d6
	;; [unrolled: 1-line block ×6, first 2 shown]
	.long	147487099                       ; 0x8ca797b
	.long	386755149                       ; 0x170d6a4d
	.long	2152759137                      ; 0x80507f61
	.long	2716532213                      ; 0xa1eafdf5
	;; [unrolled: 1-line block ×3, first 2 shown]
	.long	627929575                       ; 0x256d71e7
	.long	847454712                       ; 0x328321f8
	.long	2426916452                      ; 0x90a7ce64
	.long	3861548980                      ; 0xe62a8fb4
	.long	209825268                       ; 0xc81adf4
	.long	1090299778                      ; 0x40fca782
	.long	1876886461                      ; 0x6fdf03bd
	;; [unrolled: 3-line block ×3, first 2 shown]
	.long	3302814528                      ; 0xc4dcf340
	.long	1567440061                      ; 0x5d6d3cbd
	;; [unrolled: 1-line block ×11, first 2 shown]
	.long	274837369                       ; 0x1061af79
	.long	1413111935                      ; 0x543a607f
	.long	1754627204                      ; 0x68957c84
	;; [unrolled: 1-line block ×8, first 2 shown]
	.long	334808859                       ; 0x13f4c71b
	.long	3921757513                      ; 0xe9c14549
	.long	3870643644                      ; 0xe6b555bc
	;; [unrolled: 1-line block ×5, first 2 shown]
	.long	873365350                       ; 0x340e7f66
	.long	2479791433                      ; 0x93ce9d49
	.long	3393478881                      ; 0xca4460e1
	;; [unrolled: 1-line block ×6, first 2 shown]
	.long	268043238                       ; 0xffa03e6
	.long	2292710623                      ; 0x88a7fcdf
	.long	770651064                       ; 0x2def33b8
	.long	2330160036                      ; 0x8ae36ba4
	.long	2476488258                      ; 0x939c3642
	;; [unrolled: 1-line block ×3, first 2 shown]
	.long	118721504                       ; 0x7138be0
	.long	2289499985                      ; 0x8876ff51
	.long	987994743                       ; 0x3ae39a77
	.long	3610346256                      ; 0xd7318310
	.long	3371795927                      ; 0xc8f985d7
	;; [unrolled: 1-line block ×6, first 2 shown]
	.long	402983380                       ; 0x180509d4
	.long	3618058500                      ; 0xd7a73104
	.long	3487743585                      ; 0xcfe2be61
	.long	965523531                       ; 0x398cb84b
	.long	819256729                       ; 0x30d4dd99
	.long	2544660729                      ; 0x97ac70f9
	.long	3273986506                      ; 0xc32511ca
	.long	60894411                        ; 0x3a12ccb
	.long	1779152929                      ; 0x6a0bb821
	.long	3598159279                      ; 0xd6778daf
	;; [unrolled: 1-line block ×6, first 2 shown]
	.long	947928110                       ; 0x38803c2e
	.long	2394097908                      ; 0x8eb308f4
	.long	4004330264                      ; 0xeead3b18
	;; [unrolled: 1-line block ×11, first 2 shown]
	.long	950788009                       ; 0x38abdfa9
	.long	2105033320                      ; 0x7d784268
	.long	473205730                       ; 0x1c348be2
	.long	981905310                       ; 0x3a86af9e
	.long	2888856914                      ; 0xac307552
	.long	798112239                       ; 0x2f9239ef
	.long	3377889612                      ; 0xc956814c
	.long	2273659507                      ; 0x87854a73
	;; [unrolled: 1-line block ×5, first 2 shown]
	.long	116024754                       ; 0x6ea65b2
	.long	1432668659                      ; 0x5564c9f3
	.long	1079598649                      ; 0x40595e39
	;; [unrolled: 1-line block ×4, first 2 shown]
	.long	823643071                       ; 0x3117cbbf
	.long	1244220618                      ; 0x4a294cca
	.long	1227720039                      ; 0x492d8567
	;; [unrolled: 1-line block ×8, first 2 shown]
	.long	142767236                       ; 0x8827484
	.long	2545708383                      ; 0x97bc6d5f
	.long	1740478937                      ; 0x67bd99d9
	.long	809036862                       ; 0x3038ec3e
	.long	1492188594                      ; 0x58f0fdb2
	.long	1294286248                      ; 0x4d253da8
	;; [unrolled: 1-line block ×8, first 2 shown]
	.long	81707323                        ; 0x4dec13b
	.long	337713546                       ; 0x1421198a
	.long	1849381296                      ; 0x6e3b51b0
	.long	3447450393                      ; 0xcd7beb19
	.long	3551106302                      ; 0xd3a994fe
	.long	3394545269                      ; 0xca54a675
	.long	3167744716                      ; 0xbccff2cc
	.long	1815294624                      ; 0x6c3332a0
	.long	3244728913                      ; 0xc166a251
	.long	2462138247                      ; 0x92c13f87
	.long	2286711732                      ; 0x884c73b4
	.long	3023116169                      ; 0xb4311789
	.long	707366723                       ; 0x2a298f43
	.long	1314169762                      ; 0x4e54a3a2
	.long	1511231537                      ; 0x5a139031
	;; [unrolled: 1-line block ×9, first 2 shown]
	.long	883851756                       ; 0x34ae81ec
	.long	1355819080                      ; 0x50d02848
	.long	2834319249                      ; 0xa8f04791
	;; [unrolled: 1-line block ×4, first 2 shown]
	.long	525214560                       ; 0x1f4e2360
	.long	1972466543                      ; 0x7591736f
	.long	1542775297                      ; 0x5bf4e201
	;; [unrolled: 1-line block ×9, first 2 shown]
	.long	899111545                       ; 0x35975a79
	.long	3946601974                      ; 0xeb3c5df6
	.long	720416639                       ; 0x2af0af7f
	.long	566341007                       ; 0x21c1ad8f
	.long	3830971140                      ; 0xe457fb04
	.long	2379218430                      ; 0x8dcffdfe
	.long	946001131                       ; 0x3862d4eb
	.long	324551023                       ; 0x1358416f
	.long	3792134824                      ; 0xe20762a8
	.long	2419222364                      ; 0x9032675c
	;; [unrolled: 1-line block ×7, first 2 shown]
	.long	340092998                       ; 0x14456846
	.long	429296098                       ; 0x199689e2
	.long	3804978739                      ; 0xe2cb5e33
	.long	1547120540                      ; 0x5c372f9c
	.long	976306993                       ; 0x3a314331
	.long	1134820236                      ; 0x43a3fb8c
	.long	288696971                       ; 0x11352a8b
	.long	292350374                       ; 0x116ce9a6
	;; [unrolled: 1-line block ×3, first 2 shown]
	.long	4250561112                      ; 0xfd5a6a58
	.long	1380146522                      ; 0x52435d5a
	.long	646098313                       ; 0x2682ad89
	.long	3081299572                      ; 0xb7a8e674
	.long	3633231429                      ; 0xd88eb645
	;; [unrolled: 1-line block ×7, first 2 shown]
	.long	97607299                        ; 0x5d15e83
	.long	741626628                       ; 0x2c345304
	.long	2451882102                      ; 0x9224c076
	.long	607936604                       ; 0x243c605c
	.long	1566190301                      ; 0x5d5a2add
	.long	3752644837                      ; 0xdfacd0e5
	;; [unrolled: 1-line block ×4, first 2 shown]
	.long	120166892                       ; 0x72999ec
	.long	1936167922                      ; 0x736793f2
	.long	2964570009                      ; 0xb0b3bf99
	;; [unrolled: 1-line block ×8, first 2 shown]
	.long	396836243                       ; 0x17a73d93
	.long	2417234534                      ; 0x90141266
	.long	4219822777                      ; 0xfb8562b9
	;; [unrolled: 1-line block ×8, first 2 shown]
	.long	594136009                       ; 0x2369cbc9
	.long	1679465955                      ; 0x641a9de3
	.long	1127853612                      ; 0x4339ae2c
	.long	445673212                       ; 0x1a906efc
	.long	2491164616                      ; 0x947c27c8
	.long	4234959779                      ; 0xfc6c5ba3
	.long	3670094401                      ; 0xdac13241
	.long	2810998507                      ; 0xa78c6eeb
	.long	2091885715                      ; 0x7cafa493
	.long	4213376041                      ; 0xfb230429
	.long	3724691332                      ; 0xde024784
	.long	1428205363                      ; 0x5520af33
	.long	2351471476                      ; 0x8c289b74
	.long	1863345709                      ; 0x6f10662d
	.long	3172242044                      ; 0xbd14927c
	.long	1435176883                      ; 0x558b0fb3
	.long	925973933                       ; 0x37313dad
	.long	3166951436                      ; 0xbcc3d80c
	.long	2056462416                      ; 0x7a932050
	.long	489417029                       ; 0x1d2be945
	.long	4029854347                      ; 0xf032b28b
	.long	3002516723                      ; 0xb2f6c4f3
	;; [unrolled: 1-line block ×6, first 2 shown]
	.long	13398705                        ; 0xcc72b1
	.long	3919269221                      ; 0xe99b4d65
	.long	371331154                       ; 0x16221052
	.long	332347636                       ; 0x13cf38f4
	.long	3726033518                      ; 0xde16c26e
	.long	2407091731                      ; 0x8f794e13
	;; [unrolled: 1-line block ×5, first 2 shown]
	.long	584793525                       ; 0x22db3db5
	.long	2706493003                      ; 0xa151ce4b
	.long	561190823                       ; 0x217317a7
	.long	2412132195                      ; 0x8fc63763
	.long	2488492462                      ; 0x945361ae
	;; [unrolled: 1-line block ×9, first 2 shown]
	.long	331746013                       ; 0x13c60add
	.long	197533993                       ; 0xbc62129
	.long	3658414685                      ; 0xda0efa5d
	.long	2670729696                      ; 0x9f3019e0
	.long	3290854172                      ; 0xc426731c
	.long	2251426444                      ; 0x86320a8c
	.long	3569225076                      ; 0xd4be0d74
	.long	2466203243                      ; 0x92ff466b
	.long	658184940                       ; 0x273b1aec
	.long	518096293                       ; 0x1ee185a5
	.long	52156682                        ; 0x31bd90a
	.long	2398958685                      ; 0x8efd345d
	.long	745491615                       ; 0x2c6f4c9f
	.long	3723004242                      ; 0xdde88952
	.long	2847276077                      ; 0xa9b5fc2d
	.long	1857504125                      ; 0x6eb7437d
	.long	633035220                       ; 0x25bb59d4
	.long	4057593658                      ; 0xf1d9f73a
	.long	2783467746                      ; 0xa5e858e2
	;; [unrolled: 1-line block ×3, first 2 shown]
	.long	446601186                       ; 0x1a9e97e2
	.long	2786851490                      ; 0xa61bfaa2
	.long	261950076                       ; 0xf9d0a7c
	.long	2843506874                      ; 0xa97c78ba
	;; [unrolled: 2-line block ×3, first 2 shown]
	.long	2234513997                      ; 0x852ffa4d
	.long	315083019                       ; 0x12c7c90b
	.long	645865358                       ; 0x267f1f8e
	.long	2862243948                      ; 0xaa9a606c
	.long	1204315994                      ; 0x47c8675a
	.long	3701151065                      ; 0xdc9b1559
	.long	663411328                       ; 0x278ada80
	.long	1924727700                      ; 0x72b90394
	.long	1905843757                      ; 0x7198de2d
	.long	1483930049                      ; 0x5872f9c1
	;; [unrolled: 4-line block ×3, first 2 shown]
	.long	4079375869                      ; 0xf32655fd
	.long	4171670660                      ; 0xf8a6a484
	;; [unrolled: 1-line block ×4, first 2 shown]
	.long	525214560                       ; 0x1f4e2360
	.long	1972466543                      ; 0x7591736f
	.long	1542775297                      ; 0x5bf4e201
	;; [unrolled: 1-line block ×9, first 2 shown]
	.long	899111545                       ; 0x35975a79
	.long	3946601974                      ; 0xeb3c5df6
	.long	720416639                       ; 0x2af0af7f
	.long	566341007                       ; 0x21c1ad8f
	.long	4070101360                      ; 0xf298d170
	.long	2379218430                      ; 0x8dcffdfe
	.long	946001131                       ; 0x3862d4eb
	.long	324551023                       ; 0x1358416f
	.long	3792134824                      ; 0xe20762a8
	.long	2445126690                      ; 0x91bdac22
	.long	2507004728                      ; 0x956ddb38
	.long	4050415702                      ; 0xf16c7056
	.long	2934667964                      ; 0xaeeb7abc
	.long	3435655480                      ; 0xccc7f138
	.long	2968121571                      ; 0xb0e9f0e3
	.long	340092998                       ; 0x14456846
	.long	429296098                       ; 0x199689e2
	.long	3804978739                      ; 0xe2cb5e33
	.long	1547120540                      ; 0x5c372f9c
	;; [unrolled: 1-line block ×4, first 2 shown]
	.long	288696971                       ; 0x11352a8b
	.long	292350374                       ; 0x116ce9a6
	;; [unrolled: 1-line block ×3, first 2 shown]
	.long	1589814289                      ; 0x5ec2a411
	.long	1380146522                      ; 0x52435d5a
	.long	646098313                       ; 0x2682ad89
	.long	3081299572                      ; 0xb7a8e674
	.long	3633231429                      ; 0xd88eb645
	.long	670777956                       ; 0x27fb4264
	.long	3250735726                      ; 0xc1c24a6e
	.long	3495239618                      ; 0xd0551fc2
	;; [unrolled: 1-line block ×5, first 2 shown]
	.long	741626628                       ; 0x2c345304
	.long	2451882102                      ; 0x9224c076
	.long	607936604                       ; 0x243c605c
	.long	1566190301                      ; 0x5d5a2add
	.long	1132827700                      ; 0x43859434
	;; [unrolled: 1-line block ×4, first 2 shown]
	.long	120166892                       ; 0x72999ec
	.long	1936167922                      ; 0x736793f2
	.long	1280520333                      ; 0x4c53308d
	;; [unrolled: 1-line block ×8, first 2 shown]
	.long	396836243                       ; 0x17a73d93
	.long	2417234534                      ; 0x90141266
	.long	4219822777                      ; 0xfb8562b9
	;; [unrolled: 1-line block ×7, first 2 shown]
	.long	464826842                       ; 0x1bb4b1da
	.long	594136009                       ; 0x2369cbc9
	.long	1679465955                      ; 0x641a9de3
	.long	1127853612                      ; 0x4339ae2c
	.long	445673212                       ; 0x1a906efc
	.long	4198686893                      ; 0xfa42e0ad
	.long	4234959779                      ; 0xfc6c5ba3
	;; [unrolled: 1-line block ×5, first 2 shown]
	.long	416103731                       ; 0x18cd3d33
	.long	3724691332                      ; 0xde024784
	.long	1428205363                      ; 0x5520af33
	;; [unrolled: 1-line block ×6, first 2 shown]
	.long	925973933                       ; 0x37313dad
	.long	3166951436                      ; 0xbcc3d80c
	.long	2056462416                      ; 0x7a932050
	;; [unrolled: 1-line block ×7, first 2 shown]
	.long	681365672                       ; 0x289cd0a8
	.long	1352519428                      ; 0x509dcf04
	.long	13398705                        ; 0xcc72b1
	.long	3919269221                      ; 0xe99b4d65
	.long	371331154                       ; 0x16221052
	.long	742849231                       ; 0x2c46facf
	.long	3726033518                      ; 0xde16c26e
	.long	2407091731                      ; 0x8f794e13
	;; [unrolled: 1-line block ×5, first 2 shown]
	.long	584793525                       ; 0x22db3db5
	.long	2706493003                      ; 0xa151ce4b
	.long	561190823                       ; 0x217317a7
	.long	2412132195                      ; 0x8fc63763
	.long	3747238187                      ; 0xdf5a512b
	;; [unrolled: 1-line block ×9, first 2 shown]
	.long	331746013                       ; 0x13c60add
	.long	197533993                       ; 0xbc62129
	.long	99009902                        ; 0x5e6c56e
	.long	2670729696                      ; 0x9f3019e0
	.long	3290854172                      ; 0xc426731c
	;; [unrolled: 1-line block ×5, first 2 shown]
	.long	658184940                       ; 0x273b1aec
	.long	518096293                       ; 0x1ee185a5
	.long	52156682                        ; 0x31bd90a
	.long	2398958685                      ; 0x8efd345d
	.long	1648201186                      ; 0x623d8de2
	;; [unrolled: 1-line block ×5, first 2 shown]
	.long	633035220                       ; 0x25bb59d4
	.long	1394668680                      ; 0x5320f488
	.long	2783467746                      ; 0xa5e858e2
	;; [unrolled: 1-line block ×3, first 2 shown]
	.long	446601186                       ; 0x1a9e97e2
	.long	2786851490                      ; 0xa61bfaa2
	.long	2590549096                      ; 0x9a68a468
	;; [unrolled: 1-line block ×3, first 2 shown]
	.long	745391893                       ; 0x2c6dc715
	.long	1404094021                      ; 0x53b0c645
	.long	2234513997                      ; 0x852ffa4d
	.long	347299411                       ; 0x14b35e53
	.long	645865358                       ; 0x267f1f8e
	.long	2862243948                      ; 0xaa9a606c
	.long	1204315994                      ; 0x47c8675a
	.long	3701151065                      ; 0xdc9b1559
	.long	4028305509                      ; 0xf01b1065
	.long	1924727700                      ; 0x72b90394
	.long	1905843757                      ; 0x7198de2d
	.long	1483930049                      ; 0x5872f9c1
	.long	449616818                       ; 0x1acc9bb2
	.long	2251238906                      ; 0x862f2dfa
	.long	1840668755                      ; 0x6db66053
	.long	1671024110                      ; 0x6399cdee
	.long	4079375869                      ; 0xf32655fd
	.long	4171670660                      ; 0xf8a6a484
	.long	4080554282                      ; 0xf338512a
	.long	3886777251                      ; 0xe7ab83a3
	;; [unrolled: 8-line block ×3, first 2 shown]
	.long	2094983509                      ; 0x7cdee955
	.long	1599103627                      ; 0x5f50628b
	.long	899111545                       ; 0x35975a79
	.long	3946601974                      ; 0xeb3c5df6
	.long	720416639                       ; 0x2af0af7f
	.long	1446566513                      ; 0x5638da71
	.long	4070101360                      ; 0xf298d170
	;; [unrolled: 1-line block ×3, first 2 shown]
	.long	946001131                       ; 0x3862d4eb
	.long	324551023                       ; 0x1358416f
	.long	2945613775                      ; 0xaf927fcf
	.long	2445126690                      ; 0x91bdac22
	;; [unrolled: 1-line block ×7, first 2 shown]
	.long	340092998                       ; 0x14456846
	.long	429296098                       ; 0x199689e2
	.long	3804978739                      ; 0xe2cb5e33
	.long	3298867574                      ; 0xc4a0b976
	;; [unrolled: 1-line block ×4, first 2 shown]
	.long	288696971                       ; 0x11352a8b
	.long	292350374                       ; 0x116ce9a6
	.long	3280367987                      ; 0xc3867173
	.long	1589814289                      ; 0x5ec2a411
	;; [unrolled: 1-line block ×3, first 2 shown]
	.long	646098313                       ; 0x2682ad89
	.long	3081299572                      ; 0xb7a8e674
	.long	2536311658                      ; 0x972d0b6a
	.long	670777956                       ; 0x27fb4264
	.long	3250735726                      ; 0xc1c24a6e
	.long	3495239618                      ; 0xd0551fc2
	;; [unrolled: 1-line block ×5, first 2 shown]
	.long	741626628                       ; 0x2c345304
	.long	2451882102                      ; 0x9224c076
	.long	607936604                       ; 0x243c605c
	.long	3460165725                      ; 0xce3df05d
	.long	1132827700                      ; 0x43859434
	;; [unrolled: 1-line block ×4, first 2 shown]
	.long	120166892                       ; 0x72999ec
	.long	2961109404                      ; 0xb07ef19c
	.long	1280520333                      ; 0x4c53308d
	;; [unrolled: 1-line block ×5, first 2 shown]
	.long	755823086                       ; 0x2d0cf1ee
	.long	1073889810                      ; 0x40024212
	.long	3900360190                      ; 0xe87ac5fe
	.long	396836243                       ; 0x17a73d93
	.long	2417234534                      ; 0x90141266
	.long	3036027780                      ; 0xb4f61b84
	;; [unrolled: 1-line block ×7, first 2 shown]
	.long	464826842                       ; 0x1bb4b1da
	.long	594136009                       ; 0x2369cbc9
	.long	1679465955                      ; 0x641a9de3
	.long	1127853612                      ; 0x4339ae2c
	;; [unrolled: 1-line block ×7, first 2 shown]
	.long	421961324                       ; 0x19269e6c
	.long	416103731                       ; 0x18cd3d33
	.long	3724691332                      ; 0xde024784
	.long	1428205363                      ; 0x5520af33
	;; [unrolled: 1-line block ×6, first 2 shown]
	.long	925973933                       ; 0x37313dad
	.long	3166951436                      ; 0xbcc3d80c
	.long	1274860184                      ; 0x4bfcd298
	;; [unrolled: 1-line block ×6, first 2 shown]
	.long	671480036                       ; 0x2805f8e4
	.long	681365672                       ; 0x289cd0a8
	.long	1352519428                      ; 0x509dcf04
	.long	13398705                        ; 0xcc72b1
	.long	3919269221                      ; 0xe99b4d65
	.long	1150967289                      ; 0x449a5df9
	.long	742849231                       ; 0x2c46facf
	.long	3726033518                      ; 0xde16c26e
	.long	2407091731                      ; 0x8f794e13
	;; [unrolled: 1-line block ×5, first 2 shown]
	.long	584793525                       ; 0x22db3db5
	.long	2706493003                      ; 0xa151ce4b
	.long	561190823                       ; 0x217317a7
	.long	2013357219                      ; 0x780164a3
	.long	3747238187                      ; 0xdf5a512b
	;; [unrolled: 1-line block ×9, first 2 shown]
	.long	331746013                       ; 0x13c60add
	.long	367216863                       ; 0x15e348df
	.long	99009902                        ; 0x5e6c56e
	.long	2670729696                      ; 0x9f3019e0
	.long	3290854172                      ; 0xc426731c
	;; [unrolled: 1-line block ×5, first 2 shown]
	.long	658184940                       ; 0x273b1aec
	.long	518096293                       ; 0x1ee185a5
	.long	52156682                        ; 0x31bd90a
	.long	3004378899                      ; 0xb3132f13
	.long	1648201186                      ; 0x623d8de2
	;; [unrolled: 1-line block ×5, first 2 shown]
	.long	253542783                       ; 0xf1cc17f
	.long	1394668680                      ; 0x5320f488
	.long	2783467746                      ; 0xa5e858e2
	;; [unrolled: 1-line block ×3, first 2 shown]
	.long	446601186                       ; 0x1a9e97e2
	.long	1228837642                      ; 0x493e930a
	.long	2590549096                      ; 0x9a68a468
	;; [unrolled: 1-line block ×3, first 2 shown]
	.long	745391893                       ; 0x2c6dc715
	.long	1404094021                      ; 0x53b0c645
	.long	1324404436                      ; 0x4ef0ced4
	.long	347299411                       ; 0x14b35e53
	.long	645865358                       ; 0x267f1f8e
	.long	2862243948                      ; 0xaa9a606c
	.long	1204315994                      ; 0x47c8675a
	;; [unrolled: 1-line block ×7, first 2 shown]
	.long	330348422                       ; 0x13b0b786
	.long	2251238906                      ; 0x862f2dfa
	.long	1840668755                      ; 0x6db66053
	;; [unrolled: 1-line block ×4, first 2 shown]
	.long	606568968                       ; 0x24278208
	.long	4080554282                      ; 0xf338512a
	.long	3886777251                      ; 0xe7ab83a3
	.long	525214560                       ; 0x1f4e2360
	.long	1972466543                      ; 0x7591736f
	.long	1703103913                      ; 0x65834da9
	;; [unrolled: 1-line block ×9, first 2 shown]
	.long	899111545                       ; 0x35975a79
	.long	3946601974                      ; 0xeb3c5df6
	.long	2053673584                      ; 0x7a689270
	;; [unrolled: 1-line block ×5, first 2 shown]
	.long	946001131                       ; 0x3862d4eb
	.long	4184236551                      ; 0xf9666207
	.long	2945613775                      ; 0xaf927fcf
	;; [unrolled: 1-line block ×8, first 2 shown]
	.long	340092998                       ; 0x14456846
	.long	429296098                       ; 0x199689e2
	;; [unrolled: 1-line block ×3, first 2 shown]
	.long	3298867574                      ; 0xc4a0b976
	.long	3901803457                      ; 0xe890cbc1
	;; [unrolled: 1-line block ×3, first 2 shown]
	.long	288696971                       ; 0x11352a8b
	.long	2321943990                      ; 0x8a660db6
	.long	3280367987                      ; 0xc3867173
	;; [unrolled: 1-line block ×4, first 2 shown]
	.long	646098313                       ; 0x2682ad89
	.long	1765624343                      ; 0x693d4a17
	.long	2536311658                      ; 0x972d0b6a
	.long	670777956                       ; 0x27fb4264
	.long	3250735726                      ; 0xc1c24a6e
	.long	3495239618                      ; 0xd0551fc2
	;; [unrolled: 1-line block ×5, first 2 shown]
	.long	741626628                       ; 0x2c345304
	.long	2451882102                      ; 0x9224c076
	.long	3386124330                      ; 0xc9d4282a
	;; [unrolled: 1-line block ×6, first 2 shown]
	.long	860947846                       ; 0x33510586
	.long	2961109404                      ; 0xb07ef19c
	.long	1280520333                      ; 0x4c53308d
	;; [unrolled: 1-line block ×5, first 2 shown]
	.long	755823086                       ; 0x2d0cf1ee
	.long	1073889810                      ; 0x40024212
	.long	3900360190                      ; 0xe87ac5fe
	.long	396836243                       ; 0x17a73d93
	.long	2702634902                      ; 0xa116ef96
	.long	3036027780                      ; 0xb4f61b84
	;; [unrolled: 1-line block ×7, first 2 shown]
	.long	464826842                       ; 0x1bb4b1da
	.long	594136009                       ; 0x2369cbc9
	.long	1679465955                      ; 0x641a9de3
	.long	1500399122                      ; 0x596e4612
	;; [unrolled: 1-line block ×7, first 2 shown]
	.long	421961324                       ; 0x19269e6c
	.long	416103731                       ; 0x18cd3d33
	.long	3724691332                      ; 0xde024784
	.long	1428205363                      ; 0x5520af33
	;; [unrolled: 1-line block ×6, first 2 shown]
	.long	925973933                       ; 0x37313dad
	.long	2558479866                      ; 0x987f4dfa
	.long	1274860184                      ; 0x4bfcd298
	;; [unrolled: 1-line block ×6, first 2 shown]
	.long	671480036                       ; 0x2805f8e4
	.long	681365672                       ; 0x289cd0a8
	.long	1352519428                      ; 0x509dcf04
	.long	13398705                        ; 0xcc72b1
	.long	1532459856                      ; 0x5b577b50
	.long	1150967289                      ; 0x449a5df9
	.long	742849231                       ; 0x2c46facf
	.long	3726033518                      ; 0xde16c26e
	.long	2407091731                      ; 0x8f794e13
	;; [unrolled: 1-line block ×5, first 2 shown]
	.long	584793525                       ; 0x22db3db5
	.long	2706493003                      ; 0xa151ce4b
	.long	3817434387                      ; 0xe3896d13
	.long	2013357219                      ; 0x780164a3
	.long	3747238187                      ; 0xdf5a512b
	.long	3149885896                      ; 0xbbbf71c8
	.long	3512276852                      ; 0xd1591774
	.long	203757                          ; 0x31bed
	.long	3595347994                      ; 0xd64ca81a
	.long	3817319503                      ; 0xe387ac4f
	;; [unrolled: 1-line block ×5, first 2 shown]
	.long	367216863                       ; 0x15e348df
	.long	99009902                        ; 0x5e6c56e
	.long	2670729696                      ; 0x9f3019e0
	.long	3290854172                      ; 0xc426731c
	;; [unrolled: 1-line block ×5, first 2 shown]
	.long	658184940                       ; 0x273b1aec
	.long	518096293                       ; 0x1ee185a5
	;; [unrolled: 1-line block ×3, first 2 shown]
	.long	3004378899                      ; 0xb3132f13
	.long	1648201186                      ; 0x623d8de2
	;; [unrolled: 1-line block ×4, first 2 shown]
	.long	33113683                        ; 0x1f94653
	.long	253542783                       ; 0xf1cc17f
	.long	1394668680                      ; 0x5320f488
	.long	2783467746                      ; 0xa5e858e2
	;; [unrolled: 1-line block ×7, first 2 shown]
	.long	745391893                       ; 0x2c6dc715
	.long	809710525                       ; 0x304333bd
	.long	1324404436                      ; 0x4ef0ced4
	.long	347299411                       ; 0x14b35e53
	.long	645865358                       ; 0x267f1f8e
	.long	2862243948                      ; 0xaa9a606c
	.long	3652256751                      ; 0xd9b103ef
	;; [unrolled: 1-line block ×7, first 2 shown]
	.long	330348422                       ; 0x13b0b786
	.long	2251238906                      ; 0x862f2dfa
	.long	1840668755                      ; 0x6db66053
	;; [unrolled: 1-line block ×6, first 2 shown]
	.long	611142788                       ; 0x246d4c84
	.long	1798029112                      ; 0x6b2bbf38
	.long	2747225670                      ; 0xa3bf5646
	;; [unrolled: 1-line block ×5, first 2 shown]
	.long	416876364                       ; 0x18d9074c
	.long	700011792                       ; 0x29b95510
	.long	63929447                        ; 0x3cf7c67
	.long	822005210                       ; 0x30fecdda
	.long	3483417647                      ; 0xcfa0bc2f
	.long	3513365134                      ; 0xd169b28e
	;; [unrolled: 1-line block ×7, first 2 shown]
	.long	91270196                        ; 0x570ac34
	.long	3469862149                      ; 0xced1e505
	.long	156659741                       ; 0x956701d
	.long	1342755036                      ; 0x5008d0dc
	.long	3821302858                      ; 0xe3c4744a
	;; [unrolled: 1-line block ×3, first 2 shown]
	.long	289329863                       ; 0x113ed2c7
	.long	1357914395                      ; 0x50f0211b
	.long	4143182690                      ; 0xf6f3f362
	.long	2590503919                      ; 0x9a67f3ef
	.long	3242437796                      ; 0xc143aca4
	.long	1341085928                      ; 0x4fef58e8
	.long	2685277054                      ; 0xa00e137e
	.long	727602392                       ; 0x2b5e54d8
	.long	2581493226                      ; 0x99de75ea
	.long	3216496864                      ; 0xbfb7d8e0
	;; [unrolled: 1-line block ×6, first 2 shown]
	.long	851913526                       ; 0x32c72b36
	.long	1746266839                      ; 0x6815ead7
	.long	3370323171                      ; 0xc8e30ce3
	.long	648118190                       ; 0x26a17fae
	.long	3244211645                      ; 0xc15ebdbd
	.long	2623946928                      ; 0x9c6640b0
	;; [unrolled: 1-line block ×3, first 2 shown]
	.long	384443034                       ; 0x16ea229a
	.long	2026989771                      ; 0x78d168cb
	.long	802104797                       ; 0x2fcf25dd
	.long	2201121552                      ; 0x83327310
	;; [unrolled: 2-line block ×3, first 2 shown]
	.long	4045658814                      ; 0xf123dabe
	.long	2682764476                      ; 0x9fe7bcbc
	.long	3032306650                      ; 0xb4bd53da
	.long	2725871420                      ; 0xa2797f3c
	.long	3467522540                      ; 0xceae31ec
	.long	534803010                       ; 0x1fe07242
	.long	1135606913                      ; 0x43affc81
	.long	871336950                       ; 0x33ef8bf6
	.long	937160030                       ; 0x37dbed5e
	.long	3384357161                      ; 0xc9b93129
	.long	641566845                       ; 0x263d887d
	.long	2267407903                      ; 0x8725e61f
	.long	331847343                       ; 0x13c796af
	.long	787968740                       ; 0x2ef772e4
	.long	2673012251                      ; 0x9f52ee1b
	.long	2066357778                      ; 0x7b2a1e12
	;; [unrolled: 1-line block ×6, first 2 shown]
	.long	238548903                       ; 0xe37f7a7
	.long	2203496688                      ; 0x8356b0f0
	.long	630532448                       ; 0x25952960
	.long	3702112076                      ; 0xdca9bf4c
	.long	2635952931                      ; 0x9d1d7323
	;; [unrolled: 1-line block ×3, first 2 shown]
	.long	139406056                       ; 0x84f2ae8
	.long	2369004628                      ; 0x8d342454
	.long	3547213209                      ; 0xd36e2d99
	;; [unrolled: 1-line block ×4, first 2 shown]
	.long	616949630                       ; 0x24c5e77e
	.long	2619739101                      ; 0x9c260bdd
	.long	89360251                        ; 0x553877b
	.long	2364353701                      ; 0x8ced2ca5
	.long	1025345607                      ; 0x3d1d8847
	;; [unrolled: 1-line block ×3, first 2 shown]
	.long	62274372                        ; 0x3b63b44
	.long	3059207586                      ; 0xb657cda2
	.long	3303376016                      ; 0xc4e58490
	.long	2919795870                      ; 0xae088c9e
	.long	3676526103                      ; 0xdb235617
	.long	2689781822                      ; 0xa052d03e
	.long	1062293263                      ; 0x3f514f0f
	.long	2684605838                      ; 0xa003d58e
	.long	863975243                       ; 0x337f374b
	.long	723728777                       ; 0x2b233989
	.long	1057919510                      ; 0x3f0e9216
	.long	1708017843                      ; 0x65ce48b3
	;; [unrolled: 1-line block ×5, first 2 shown]
	.long	328415103                       ; 0x1393377f
	.long	1117948849                      ; 0x42a28bb1
	.long	751056929                       ; 0x2cc43821
	.long	2442147201                      ; 0x91903581
	.long	1781170563                      ; 0x6a2a8183
	.long	765377308                       ; 0x2d9ebb1c
	.long	961452970                       ; 0x394e9baa
	.long	4247303973                      ; 0xfd28b725
	.long	2233034754                      ; 0x85196802
	.long	86997820                        ; 0x52f7b3c
	.long	3495561473                      ; 0xd05a0901
	.long	3075957349                      ; 0xb7576265
	;; [unrolled: 1-line block ×4, first 2 shown]
	.long	708134514                       ; 0x2a354672
	.long	26714613                        ; 0x197a1f5
	.long	3749542051                      ; 0xdf7d78a3
	.long	1640668224                      ; 0x61ca9c40
	.long	2252760600                      ; 0x86466618
	.long	1635050662                      ; 0x6174e4a6
	.long	947216628                       ; 0x387560f4
	.long	3612773344                      ; 0xd7568be0
	.long	4089189500                      ; 0xf3bc147c
	.long	3647048119                      ; 0xd96189b7
	.long	979491227                       ; 0x3a61d99b
	.long	4149824933                      ; 0xf7594da5
	.long	3160885292                      ; 0xbc67482c
	.long	2808843788                      ; 0xa76b8e0c
	;; [unrolled: 4-line block ×3, first 2 shown]
	.long	279338980                       ; 0x10a65fe4
	.long	2507635299                      ; 0x95777a63
	.long	1614929524                      ; 0x6041de74
	.long	302060483                       ; 0x120113c3
	.long	2874453052                      ; 0xab54ac3c
	.long	3798613814                      ; 0xe26a3f36
	;; [unrolled: 1-line block ×12, first 2 shown]
	.long	247755133                       ; 0xec4717d
	.long	2088596201                      ; 0x7c7d72e9
	.long	3154955976                      ; 0xbc0ccec8
	;; [unrolled: 1-line block ×19, first 2 shown]
	.long	384814263                       ; 0x16efccb7
	.long	1552361757                      ; 0x5c87291d
	.long	3521369641                      ; 0xd1e3d629
	.long	431721717                       ; 0x19bb8cf5
	.long	3089625732                      ; 0xb827f284
	.long	1023760034                      ; 0x3d0556a2
	.long	53847139                        ; 0x335a463
	.long	2240881978                      ; 0x8591253a
	.long	3178046414                      ; 0xbd6d23ce
	.long	145135653                       ; 0x8a69825
	.long	1580878781                      ; 0x5e3a4bbd
	.long	3500228040                      ; 0xd0a13dc8
	;; [unrolled: 1-line block ×9, first 2 shown]
	.long	435155769                       ; 0x19eff339
	.long	3234730070                      ; 0xc0ce1056
	.long	3306545960                      ; 0xc515e328
	;; [unrolled: 1-line block ×4, first 2 shown]
	.long	125389349                       ; 0x7794a25
	.long	2397544348                      ; 0x8ee79f9c
	.long	2504790975                      ; 0x954c13bf
	.long	886432257                       ; 0x34d5e201
	.long	1804136430                      ; 0x6b88efee
	.long	1506551086                      ; 0x59cc252e
	.long	219847214                       ; 0xd1a9a2e
	.long	890282686                       ; 0x3510a2be
	.long	1489840806                      ; 0x58cd2aa6
	.long	2536942497                      ; 0x9736aba1
	.long	87527661                        ; 0x53790ed
	.long	1822718904                      ; 0x6ca47bb8
	.long	3984956867                      ; 0xed859dc3
	;; [unrolled: 1-line block ×4, first 2 shown]
	.long	992104547                       ; 0x3b225063
	.long	1566792845                      ; 0x5d635c8d
	.long	1068226712                      ; 0x3fabd898
	;; [unrolled: 1-line block ×3, first 2 shown]
	.long	921431708                       ; 0x36ebee9c
	.long	2833392639                      ; 0xa8e223ff
	.long	640267449                       ; 0x2629b4b9
	.long	324907409                       ; 0x135db191
	.long	3911698049                      ; 0xe927c681
	.long	2108189994                      ; 0x7da86d2a
	;; [unrolled: 1-line block ×3, first 2 shown]
	.long	52771719                        ; 0x3253b87
	.long	467926435                       ; 0x1be3fda3
	.long	2811768106                      ; 0xa7982d2a
	.long	3760723083                      ; 0xe028148b
	.long	906402727                       ; 0x36069ba7
	.long	3438479463                      ; 0xccf30867
	.long	2064004404                      ; 0x7b063534
	.long	988123982                       ; 0x3ae5934e
	.long	563076447                       ; 0x218fdd5f
	.long	2979641383                      ; 0xb199b827
	.long	1366086397                      ; 0x516cd2fd
	;; [unrolled: 1-line block ×5, first 2 shown]
	.long	615363273                       ; 0x24adb2c9
	.long	1388831706                      ; 0x52c7e3da
	.long	1586480552                      ; 0x5e8fc5a8
	;; [unrolled: 1-line block ×7, first 2 shown]
	.long	180612020                       ; 0xac3ebb4
	.long	930406098                       ; 0x3774ded2
	.long	4286819113                      ; 0xff83ab29
	.long	2756562967                      ; 0xa44dd017
	;; [unrolled: 1-line block ×4, first 2 shown]
	.long	467484533                       ; 0x1bdd3f75
	.long	4122644954                      ; 0xf5ba91da
	.long	3517116598                      ; 0xd1a2f0b6
	;; [unrolled: 1-line block ×7, first 2 shown]
	.long	152166773                       ; 0x911e175
	.long	146763911                       ; 0x8bf7087
	;; [unrolled: 1-line block ×4, first 2 shown]
	.long	3681433244                      ; 0xdb6e369c
	.long	1194909733                      ; 0x4738e025
	;; [unrolled: 1-line block ×4, first 2 shown]
	.long	846842608                       ; 0x3279caf0
	.long	687314083                       ; 0x28f794a3
	.long	1144793694                      ; 0x443c2a5e
	.long	1062075916                      ; 0x3f4dfe0c
	;; [unrolled: 1-line block ×4, first 2 shown]
	.long	981862419                       ; 0x3a860813
	.long	2363304726                      ; 0x8cdd2b16
	.long	3242788356                      ; 0xc1490604
	.long	3359957762                      ; 0xc844e302
	.long	4249190787                      ; 0xfd458183
	.long	1697910336                      ; 0x65340e40
	.long	3286799886                      ; 0xc3e8960e
	.long	1063822293                      ; 0x3f68a3d5
	.long	3246091430                      ; 0xc17b6ca6
	.long	743808559                       ; 0x2c559e2f
	.long	2137668568                      ; 0x7f6a3bd8
	.long	2812072749                      ; 0xa79cd32d
	;; [unrolled: 1-line block ×16, first 2 shown]
	.long	831552834                       ; 0x31907d42
	.long	2935863403                      ; 0xaefdb86b
	.long	449217054                       ; 0x1ac6821e
	.long	3688067832                      ; 0xdbd372f8
	.long	1048877596                      ; 0x3e849a1c
	;; [unrolled: 1-line block ×3, first 2 shown]
	.long	553867520                       ; 0x21035900
	.long	3682575786                      ; 0xdb7fa5aa
	.long	3058863948                      ; 0xb6528f4c
	;; [unrolled: 1-line block ×3, first 2 shown]
	.long	4131625                         ; 0x3f0b29
	.long	2434123776                      ; 0x9115c800
	.long	2235627905                      ; 0x8540f981
	;; [unrolled: 1-line block ×10, first 2 shown]
	.long	357805687                       ; 0x1553ae77
	.long	3868946146                      ; 0xe69b6ee2
	.long	1938156793                      ; 0x7385ecf9
	;; [unrolled: 1-line block ×4, first 2 shown]
	.long	30638250                        ; 0x1d380aa
	.long	2465501566                      ; 0x92f4917e
	.long	4218547770                      ; 0xfb71ee3a
	;; [unrolled: 1-line block ×4, first 2 shown]
	.long	448998968                       ; 0x1ac32e38
	.long	1312641799                      ; 0x4e3d5307
	.long	2243363271                      ; 0x85b701c7
	;; [unrolled: 1-line block ×3, first 2 shown]
	.long	384814263                       ; 0x16efccb7
	.long	2229663001                      ; 0x84e5f519
	.long	3521369641                      ; 0xd1e3d629
	.long	431721717                       ; 0x19bb8cf5
	.long	3089625732                      ; 0xb827f284
	.long	1023760034                      ; 0x3d0556a2
	;; [unrolled: 3-line block ×3, first 2 shown]
	.long	145135653                       ; 0x8a69825
	.long	1580878781                      ; 0x5e3a4bbd
	.long	847577516                       ; 0x328501ac
	.long	3360910006                      ; 0xc8536ab6
	.long	3285542950                      ; 0xc3d56826
	;; [unrolled: 1-line block ×4, first 2 shown]
	.long	112738978                       ; 0x6b842a2
	.long	4222704363                      ; 0xfbb15aeb
	.long	2973046526                      ; 0xb13516fe
	.long	435155769                       ; 0x19eff339
	.long	3234730070                      ; 0xc0ce1056
	.long	1135073835                      ; 0x43a7da2b
	;; [unrolled: 1-line block ×4, first 2 shown]
	.long	125389349                       ; 0x7794a25
	.long	2397544348                      ; 0x8ee79f9c
	.long	1243128255                      ; 0x4a18a1bf
	.long	886432257                       ; 0x34d5e201
	.long	1804136430                      ; 0x6b88efee
	.long	1506551086                      ; 0x59cc252e
	.long	219847214                       ; 0xd1a9a2e
	.long	875051553                       ; 0x34283a21
	.long	1489840806                      ; 0x58cd2aa6
	.long	2536942497                      ; 0x9736aba1
	.long	87527661                        ; 0x53790ed
	.long	1822718904                      ; 0x6ca47bb8
	.long	1883615145                      ; 0x7045afa9
	;; [unrolled: 1-line block ×4, first 2 shown]
	.long	992104547                       ; 0x3b225063
	.long	1566792845                      ; 0x5d635c8d
	.long	1037132511                      ; 0x3dd162df
	;; [unrolled: 1-line block ×3, first 2 shown]
	.long	921431708                       ; 0x36ebee9c
	.long	2833392639                      ; 0xa8e223ff
	.long	640267449                       ; 0x2629b4b9
	.long	504304037                       ; 0x1e0f11a5
	.long	3911698049                      ; 0xe927c681
	.long	2108189994                      ; 0x7da86d2a
	.long	1623761598                      ; 0x60c8a2be
	.long	52771719                        ; 0x3253b87
	.long	3969520254                      ; 0xec9a127e
	.long	2811768106                      ; 0xa7982d2a
	;; [unrolled: 1-line block ×3, first 2 shown]
	.long	906402727                       ; 0x36069ba7
	.long	3438479463                      ; 0xccf30867
	.long	3707538496                      ; 0xdcfc8c40
	.long	988123982                       ; 0x3ae5934e
	.long	563076447                       ; 0x218fdd5f
	.long	2979641383                      ; 0xb199b827
	.long	1366086397                      ; 0x516cd2fd
	;; [unrolled: 1-line block ×5, first 2 shown]
	.long	615363273                       ; 0x24adb2c9
	.long	1388831706                      ; 0x52c7e3da
	.long	903353909                       ; 0x35d81635
	.long	4216838311                      ; 0xfb57d8a7
	.long	3587550780                      ; 0xd5d5ae3c
	;; [unrolled: 1-line block ×5, first 2 shown]
	.long	180612020                       ; 0xac3ebb4
	.long	930406098                       ; 0x3774ded2
	.long	4286819113                      ; 0xff83ab29
	.long	2756562967                      ; 0xa44dd017
	;; [unrolled: 1-line block ×4, first 2 shown]
	.long	467484533                       ; 0x1bdd3f75
	.long	4122644954                      ; 0xf5ba91da
	.long	3517116598                      ; 0xd1a2f0b6
	.long	139409766                       ; 0x84f3966
	.long	4217569180                      ; 0xfb62ff9c
	.long	4191149652                      ; 0xf9cfde54
	;; [unrolled: 1-line block ×4, first 2 shown]
	.long	504815033                       ; 0x1e16ddb9
	.long	146763911                       ; 0x8bf7087
	;; [unrolled: 1-line block ×4, first 2 shown]
	.long	3681433244                      ; 0xdb6e369c
	.long	2166865052                      ; 0x8127bc9c
	;; [unrolled: 1-line block ×4, first 2 shown]
	.long	846842608                       ; 0x3279caf0
	.long	687314083                       ; 0x28f794a3
	;; [unrolled: 1-line block ×3, first 2 shown]
	.long	1062075916                      ; 0x3f4dfe0c
	.long	3017627145                      ; 0xb3dd5609
	;; [unrolled: 1-line block ×3, first 2 shown]
	.long	981862419                       ; 0x3a860813
	.long	2405232584                      ; 0x8f5cefc8
	.long	3242788356                      ; 0xc1490604
	.long	3359957762                      ; 0xc844e302
	.long	4249190787                      ; 0xfd458183
	.long	1697910336                      ; 0x65340e40
	.long	3517294012                      ; 0xd1a5a5bc
	.long	1063822293                      ; 0x3f68a3d5
	.long	3246091430                      ; 0xc17b6ca6
	.long	743808559                       ; 0x2c559e2f
	.long	2137668568                      ; 0x7f6a3bd8
	.long	2962825355                      ; 0xb099208b
	;; [unrolled: 1-line block ×18, first 2 shown]
	.long	449217054                       ; 0x1ac6821e
	.long	3688067832                      ; 0xdbd372f8
	.long	1048877596                      ; 0x3e849a1c
	.long	983648949                       ; 0x3aa14ab5
	.long	553867520                       ; 0x21035900
	.long	3682575786                      ; 0xdb7fa5aa
	.long	3058863948                      ; 0xb6528f4c
	;; [unrolled: 1-line block ×8, first 2 shown]
	.long	461707508                       ; 0x1b8518f4
	.long	1182242507                      ; 0x467796cb
	.long	2792234422                      ; 0xa66e1db6
	;; [unrolled: 1-line block ×5, first 2 shown]
	.long	357805687                       ; 0x1553ae77
	.long	3868946146                      ; 0xe69b6ee2
	.long	1938156793                      ; 0x7385ecf9
	;; [unrolled: 1-line block ×4, first 2 shown]
	.long	30638250                        ; 0x1d380aa
	.long	2465501566                      ; 0x92f4917e
	.long	4218547770                      ; 0xfb71ee3a
	;; [unrolled: 1-line block ×4, first 2 shown]
	.long	448998968                       ; 0x1ac32e38
	.long	1312641799                      ; 0x4e3d5307
	.long	2243363271                      ; 0x85b701c7
	;; [unrolled: 1-line block ×6, first 2 shown]
	.long	431721717                       ; 0x19bb8cf5
	.long	3089625732                      ; 0xb827f284
	.long	2420359327                      ; 0x9043c09f
	.long	790771414                       ; 0x2f2236d6
	.long	2240881978                      ; 0x8591253a
	.long	3178046414                      ; 0xbd6d23ce
	.long	145135653                       ; 0x8a69825
	.long	3411014139                      ; 0xcb4ff1fb
	.long	847577516                       ; 0x328501ac
	.long	3360910006                      ; 0xc8536ab6
	.long	3285542950                      ; 0xc3d56826
	;; [unrolled: 1-line block ×4, first 2 shown]
	.long	112738978                       ; 0x6b842a2
	.long	4222704363                      ; 0xfbb15aeb
	.long	2973046526                      ; 0xb13516fe
	.long	435155769                       ; 0x19eff339
	.long	1154160505                      ; 0x44cb1779
	.long	1135073835                      ; 0x43a7da2b
	;; [unrolled: 1-line block ×4, first 2 shown]
	.long	125389349                       ; 0x7794a25
	.long	1396475349                      ; 0x533c85d5
	.long	1243128255                      ; 0x4a18a1bf
	.long	886432257                       ; 0x34d5e201
	.long	1804136430                      ; 0x6b88efee
	.long	1506551086                      ; 0x59cc252e
	;; [unrolled: 1-line block ×3, first 2 shown]
	.long	875051553                       ; 0x34283a21
	.long	1489840806                      ; 0x58cd2aa6
	.long	2536942497                      ; 0x9736aba1
	.long	87527661                        ; 0x53790ed
	.long	2521823325                      ; 0x964ff85d
	.long	1883615145                      ; 0x7045afa9
	;; [unrolled: 1-line block ×4, first 2 shown]
	.long	992104547                       ; 0x3b225063
	.long	3431387970                      ; 0xcc86d342
	.long	1037132511                      ; 0x3dd162df
	;; [unrolled: 1-line block ×3, first 2 shown]
	.long	921431708                       ; 0x36ebee9c
	.long	2833392639                      ; 0xa8e223ff
	.long	780276883                       ; 0x2e821493
	.long	504304037                       ; 0x1e0f11a5
	.long	3911698049                      ; 0xe927c681
	.long	2108189994                      ; 0x7da86d2a
	;; [unrolled: 1-line block ×7, first 2 shown]
	.long	906402727                       ; 0x36069ba7
	.long	2319993554                      ; 0x8a484ad2
	.long	3707538496                      ; 0xdcfc8c40
	.long	988123982                       ; 0x3ae5934e
	.long	563076447                       ; 0x218fdd5f
	.long	2979641383                      ; 0xb199b827
	.long	3703509163                      ; 0xdcbf10ab
	;; [unrolled: 1-line block ×5, first 2 shown]
	.long	615363273                       ; 0x24adb2c9
	.long	3925135746                      ; 0xe9f4d182
	.long	903353909                       ; 0x35d81635
	.long	4216838311                      ; 0xfb57d8a7
	.long	3587550780                      ; 0xd5d5ae3c
	;; [unrolled: 1-line block ×5, first 2 shown]
	.long	180612020                       ; 0xac3ebb4
	.long	930406098                       ; 0x3774ded2
	.long	4286819113                      ; 0xff83ab29
	.long	571849466                       ; 0x2215bafa
	.long	1950528802                      ; 0x7442b522
	.long	3844482428                      ; 0xe526257c
	.long	467484533                       ; 0x1bdd3f75
	.long	4122644954                      ; 0xf5ba91da
	;; [unrolled: 3-line block ×3, first 2 shown]
	.long	4191149652                      ; 0xf9cfde54
	.long	2756931330                      ; 0xa4536f02
	.long	84389584                        ; 0x507aed0
	.long	504815033                       ; 0x1e16ddb9
	.long	146763911                       ; 0x8bf7087
	;; [unrolled: 1-line block ×5, first 2 shown]
	.long	2166865052                      ; 0x8127bc9c
	.long	3713568496                      ; 0xdd588ef0
	;; [unrolled: 1-line block ×3, first 2 shown]
	.long	846842608                       ; 0x3279caf0
	.long	2123715146                      ; 0x7e95524a
	.long	135403542                       ; 0x8121816
	.long	1062075916                      ; 0x3f4dfe0c
	.long	3017627145                      ; 0xb3dd5609
	;; [unrolled: 1-line block ×12, first 2 shown]
	.long	743808559                       ; 0x2c559e2f
	.long	2821229002                      ; 0xa82889ca
	.long	2962825355                      ; 0xb099208b
	;; [unrolled: 1-line block ×5, first 2 shown]
	.long	503886017                       ; 0x1e08b0c1
	.long	2344237973                      ; 0x8bba3b95
	.long	1272618849                      ; 0x4bda9f61
	;; [unrolled: 1-line block ×12, first 2 shown]
	.long	449217054                       ; 0x1ac6821e
	.long	3688067832                      ; 0xdbd372f8
	.long	3556237148                      ; 0xd3f7df5c
	.long	983648949                       ; 0x3aa14ab5
	.long	553867520                       ; 0x21035900
	.long	3682575786                      ; 0xdb7fa5aa
	.long	3058863948                      ; 0xb6528f4c
	;; [unrolled: 1-line block ×8, first 2 shown]
	.long	461707508                       ; 0x1b8518f4
	.long	1182242507                      ; 0x467796cb
	.long	2792234422                      ; 0xa66e1db6
	;; [unrolled: 1-line block ×5, first 2 shown]
	.long	357805687                       ; 0x1553ae77
	.long	3868946146                      ; 0xe69b6ee2
	.long	1938156793                      ; 0x7385ecf9
	;; [unrolled: 1-line block ×4, first 2 shown]
	.long	30638250                        ; 0x1d380aa
	.long	2465501566                      ; 0x92f4917e
	.long	4218547770                      ; 0xfb71ee3a
	;; [unrolled: 1-line block ×4, first 2 shown]
	.long	448998968                       ; 0x1ac32e38
	.long	1312641799                      ; 0x4e3d5307
	.long	2243363271                      ; 0x85b701c7
	.long	313553894                       ; 0x12b073e6
	.long	3465588695                      ; 0xce90afd7
	.long	2229663001                      ; 0x84e5f519
	;; [unrolled: 1-line block ×3, first 2 shown]
	.long	431721717                       ; 0x19bb8cf5
	.long	737541534                       ; 0x2bf5fd9e
	.long	2420359327                      ; 0x9043c09f
	.long	790771414                       ; 0x2f2236d6
	.long	2240881978                      ; 0x8591253a
	.long	3178046414                      ; 0xbd6d23ce
	.long	326569272                       ; 0x13770d38
	.long	3411014139                      ; 0xcb4ff1fb
	.long	847577516                       ; 0x328501ac
	.long	3360910006                      ; 0xc8536ab6
	.long	3285542950                      ; 0xc3d56826
	;; [unrolled: 1-line block ×4, first 2 shown]
	.long	112738978                       ; 0x6b842a2
	.long	4222704363                      ; 0xfbb15aeb
	.long	2973046526                      ; 0xb13516fe
	;; [unrolled: 1-line block ×10, first 2 shown]
	.long	886432257                       ; 0x34d5e201
	.long	1804136430                      ; 0x6b88efee
	.long	2162242501                      ; 0x80e133c5
	;; [unrolled: 1-line block ×3, first 2 shown]
	.long	875051553                       ; 0x34283a21
	.long	1489840806                      ; 0x58cd2aa6
	.long	2536942497                      ; 0x9736aba1
	;; [unrolled: 1-line block ×11, first 2 shown]
	.long	921431708                       ; 0x36ebee9c
	.long	2612105434                      ; 0x9bb190da
	.long	780276883                       ; 0x2e821493
	.long	504304037                       ; 0x1e0f11a5
	.long	3911698049                      ; 0xe927c681
	.long	2108189994                      ; 0x7da86d2a
	.long	2518535877                      ; 0x961dcec5
	.long	1832564202                      ; 0x6d3ab5ea
	.long	3969520254                      ; 0xec9a127e
	.long	2811768106                      ; 0xa7982d2a
	.long	3760723083                      ; 0xe028148b
	.long	2894544992                      ; 0xac874060
	.long	2319993554                      ; 0x8a484ad2
	.long	3707538496                      ; 0xdcfc8c40
	.long	988123982                       ; 0x3ae5934e
	.long	563076447                       ; 0x218fdd5f
	;; [unrolled: 1-line block ×3, first 2 shown]
	.long	3703509163                      ; 0xdcbf10ab
	.long	3577913613                      ; 0xd542a10d
	;; [unrolled: 1-line block ×6, first 2 shown]
	.long	903353909                       ; 0x35d81635
	.long	4216838311                      ; 0xfb57d8a7
	.long	3587550780                      ; 0xd5d5ae3c
	;; [unrolled: 1-line block ×5, first 2 shown]
	.long	180612020                       ; 0xac3ebb4
	.long	930406098                       ; 0x3774ded2
	.long	1054512059                      ; 0x3eda93bb
	.long	571849466                       ; 0x2215bafa
	.long	1950528802                      ; 0x7442b522
	.long	3844482428                      ; 0xe526257c
	.long	467484533                       ; 0x1bdd3f75
	.long	1437844285                      ; 0x55b3c33d
	;; [unrolled: 3-line block ×3, first 2 shown]
	.long	4191149652                      ; 0xf9cfde54
	.long	1161452915                      ; 0x453a5d73
	.long	84389584                        ; 0x507aed0
	.long	504815033                       ; 0x1e16ddb9
	.long	146763911                       ; 0x8bf7087
	;; [unrolled: 1-line block ×3, first 2 shown]
	.long	3965987378                      ; 0xec642a32
	.long	281139563                       ; 0x10c1d96b
	.long	2166865052                      ; 0x8127bc9c
	.long	3713568496                      ; 0xdd588ef0
	;; [unrolled: 1-line block ×5, first 2 shown]
	.long	135403542                       ; 0x8121816
	.long	1062075916                      ; 0x3f4dfe0c
	.long	3017627145                      ; 0xb3dd5609
	;; [unrolled: 1-line block ×18, first 2 shown]
	.long	503886017                       ; 0x1e08b0c1
	.long	2344237973                      ; 0x8bba3b95
	.long	1272618849                      ; 0x4bda9f61
	;; [unrolled: 1-line block ×12, first 2 shown]
	.long	449217054                       ; 0x1ac6821e
	.long	2465297154                      ; 0x92f17302
	.long	3556237148                      ; 0xd3f7df5c
	.long	983648949                       ; 0x3aa14ab5
	.long	553867520                       ; 0x21035900
	.long	3682575786                      ; 0xdb7fa5aa
	.long	4023654874                      ; 0xefd419da
	.long	3200838331                      ; 0xbec8eabb
	.long	2552994282                      ; 0x982b99ea
	.long	2434123776                      ; 0x9115c800
	.long	2235627905                      ; 0x8540f981
	.long	3063253867                      ; 0xb6958b6b
	.long	4178312045                      ; 0xf90bfb6d
	.long	461707508                       ; 0x1b8518f4
	.long	1182242507                      ; 0x467796cb
	.long	2792234422                      ; 0xa66e1db6
	.long	3673318927                      ; 0xdaf2660f
	.long	1249828417                      ; 0x4a7ede41
	.long	2772427670                      ; 0xa53fe396
	.long	1052324962                      ; 0x3eb93462
	.long	3106530204                      ; 0xb929e39c
	.long	2843183862                      ; 0xa9778af6
	;; [unrolled: 9-line block ×3, first 2 shown]
	.long	2754906610                      ; 0xa43489f2
	.long	1615859006                      ; 0x60500d3e
	.long	285467698                       ; 0x1103e432
	.long	4013475548                      ; 0xef38c6dc
	.long	1287384555                      ; 0x4cbbedeb
	;; [unrolled: 1-line block ×7, first 2 shown]
	.long	228664781                       ; 0xda125cd
	.long	2501369720                      ; 0x9517df78
	.long	2516229872                      ; 0x95fa9ef0
	;; [unrolled: 1-line block ×4, first 2 shown]
	.long	750661412                       ; 0x2cbe2f24
	.long	1142144084                      ; 0x4413bc54
	.long	2705268946                      ; 0xa13f20d2
	;; [unrolled: 1-line block ×3, first 2 shown]
	.long	589587862                       ; 0x23246596
	.long	3604281130                      ; 0xd6d4f72a
	.long	3217245915                      ; 0xbfc346db
	;; [unrolled: 1-line block ×5, first 2 shown]
	.long	438550637                       ; 0x1a23c06d
	.long	1774088146                      ; 0x69be6fd2
	.long	3237803593                      ; 0xc0fcf649
	.long	827476363                       ; 0x3152498b
	.long	404982536                       ; 0x18238b08
	.long	2344744845                      ; 0x8bc1f78d
	.long	3416436851                      ; 0xcba2b073
	.long	369597250                       ; 0x16079b42
	;; [unrolled: 4-line block ×3, first 2 shown]
	.long	3229729092                      ; 0xc081c144
	.long	3214122057                      ; 0xbf939c49
	;; [unrolled: 1-line block ×11, first 2 shown]
	.long	497295490                       ; 0x1da42082
	.long	3427602420                      ; 0xcc4d0ff4
	.long	3229774907                      ; 0xc082743b
	.long	59257138                        ; 0x3883132
	.long	856364156                       ; 0x330b147c
	.long	429586733                       ; 0x199af92d
	.long	1800559699                      ; 0x6b525c53
	.long	1300239050                      ; 0x4d8012ca
	.long	1311125646                      ; 0x4e26308e
	.long	257421988                       ; 0xf57f2a4
	.long	3749074142                      ; 0xdf7654de
	.long	1648939149                      ; 0x6248d08d
	.long	1914174865                      ; 0x7217fd91
	;; [unrolled: 4-line block ×3, first 2 shown]
	.long	3210070699                      ; 0xbf55caab
	.long	1867126432                      ; 0x6f4a16a0
	;; [unrolled: 1-line block ×3, first 2 shown]
	.long	953084407                       ; 0x38cee9f7
	.long	2185095866                      ; 0x823deaba
	.long	1427606476                      ; 0x55178bcc
	;; [unrolled: 1-line block ×8, first 2 shown]
	.long	215820858                       ; 0xcdd2a3a
	.long	2279282461                      ; 0x87db171d
	.long	3861049095                      ; 0xe622ef07
	;; [unrolled: 1-line block ×3, first 2 shown]
	.long	208707366                       ; 0xc709f26
	.long	2741570297                      ; 0xa3690af9
	.long	440313302                       ; 0x1a3ea5d6
	.long	864288468                       ; 0x3383fed4
	.long	1564945290                      ; 0x5d472b8a
	.long	1050929272                      ; 0x3ea3e878
	;; [unrolled: 1-line block ×15, first 2 shown]
	.long	125648941                       ; 0x77d402d
	.long	1933617693                      ; 0x7340aa1d
	.long	2971178569                      ; 0xb1189649
	;; [unrolled: 1-line block ×3, first 2 shown]
	.long	448962137                       ; 0x1ac29e59
	.long	652123777                       ; 0x26de9e81
	.long	2393871920                      ; 0x8eaf9630
	.long	3938047691                      ; 0xeab9d6cb
	.long	244410098                       ; 0xe9166f2
	.long	3110791961                      ; 0xb96aeb19
	.long	3122318189                      ; 0xba1acb6d
	.long	877378106                       ; 0x344bba3a
	.long	3683644255                      ; 0xdb8ff35f
	.long	4279094311                      ; 0xff0dcc27
	.long	3638987055                      ; 0xd8e6892f
	.long	667681197                       ; 0x27cc01ad
	.long	1679868535                      ; 0x6420c277
	.long	1938378101                      ; 0x73894d75
	;; [unrolled: 1-line block ×3, first 2 shown]
	.long	734163051                       ; 0x2bc2706b
	.long	3409564713                      ; 0xcb39d429
	.long	955108672                       ; 0x38edcd40
	.long	3969637663                      ; 0xec9bdd1f
	.long	156515523                       ; 0x9543cc3
	.long	1871394552                      ; 0x6f8b36f8
	.long	590275639                       ; 0x232ee437
	.long	3237133664                      ; 0xc0f2bd60
	.long	898438533                       ; 0x358d1585
	.long	2291347006                      ; 0x88932e3e
	.long	644781653                       ; 0x266e9655
	.long	3575493549                      ; 0xd51db3ad
	.long	1206698159                      ; 0x47ecc0af
	.long	2484805619                      ; 0x941b1ff3
	;; [unrolled: 1-line block ×5, first 2 shown]
	.long	161562563                       ; 0x9a13fc3
	.long	3077166456                      ; 0xb769d578
	.long	792874130                       ; 0x2f424c92
	.long	3193406610                      ; 0xbe578492
	.long	2500233218                      ; 0x95068802
	.long	596837225                       ; 0x23930369
	.long	3667458052                      ; 0xda98f804
	.long	3239960816                      ; 0xc11de0f0
	;; [unrolled: 1-line block ×11, first 2 shown]
	.long	426635932                       ; 0x196df29c
	.long	2702495453                      ; 0xa114cedd
	.long	725679489                       ; 0x2b40fd81
	.long	3705541400                      ; 0xdcde1318
	.long	1308182381                      ; 0x4df9476d
	.long	27549785                        ; 0x1a46059
	.long	3000675918                      ; 0xb2daae4e
	.long	2982141597                      ; 0xb1bfde9d
	;; [unrolled: 1-line block ×3, first 2 shown]
	.long	755020243                       ; 0x2d00b1d3
	.long	3986354189                      ; 0xed9af00d
	.long	2529541113                      ; 0x96c5bbf9
	.long	452574019                       ; 0x1af9bb43
	.long	2384876926                      ; 0x8e26557e
	.long	2147764179                      ; 0x800447d3
	;; [unrolled: 1-line block ×8, first 2 shown]
	.long	582568392                       ; 0x22b949c8
	.long	4228353628                      ; 0xfc078e5c
	.long	701214306                       ; 0x29cbae62
	.long	2460043371                      ; 0x92a1486b
	.long	3943376509                      ; 0xeb0b267d
	;; [unrolled: 1-line block ×4, first 2 shown]
	.long	859309333                       ; 0x33380515
	.long	2928621220                      ; 0xae8f36a4
	.long	1933644685                      ; 0x7341138d
	;; [unrolled: 1-line block ×5, first 2 shown]
	.long	790233558                       ; 0x2f1a01d6
	.long	2517540072                      ; 0x960e9ce8
	.long	2823327610                      ; 0xa8488f7a
	;; [unrolled: 1-line block ×9, first 2 shown]
	.long	67684812                        ; 0x408c9cc
	.long	4019593497                      ; 0xef962119
	.long	2636283634                      ; 0x9d227ef2
	;; [unrolled: 1-line block ×3, first 2 shown]
	.long	51111285                        ; 0x30be575
	.long	15338687                        ; 0xea0cbf
	.long	3779021741                      ; 0xe13f4bad
	.long	3987886044                      ; 0xedb24fdc
	.long	70037785                        ; 0x42cb119
	.long	2009147353                      ; 0x77c127d9
	.long	4236701871                      ; 0xfc86f0af
	.long	928261128                       ; 0x37542408
	.long	2185183571                      ; 0x823f4153
	.long	2793993680                      ; 0xa688f5d0
	;; [unrolled: 1-line block ×5, first 2 shown]
	.long	823585671                       ; 0x3116eb87
	.long	4153354125                      ; 0xf78f278d
	.long	509071385                       ; 0x1e57d019
	.long	2056228251                      ; 0x7a8f8d9b
	.long	4034784810                      ; 0xf07dee2a
	.long	96820040                        ; 0x5c55b48
	.long	169863045                       ; 0xa1fe785
	.long	932848332                       ; 0x379a22cc
	.long	2282651407                      ; 0x880e7f0f
	.long	747279843                       ; 0x2c8a95e3
	.long	1387211022                      ; 0x52af290e
	.long	2410099142                      ; 0x8fa731c6
	;; [unrolled: 1-line block ×8, first 2 shown]
	.long	249137656                       ; 0xed989f8
	.long	2477445202                      ; 0x93aad052
	.long	3952155443                      ; 0xeb911b33
	.long	392730170                       ; 0x1768963a
	.long	4208559971                      ; 0xfad98763
	.long	24751401                        ; 0x179ad29
	.long	661761054                       ; 0x2771ac1e
	.long	1574175475                      ; 0x5dd402f3
	.long	2715927647                      ; 0xa1e1c45f
	.long	985309803                       ; 0x3abaa26b
	.long	2570053358                      ; 0x992fe6ee
	.long	619269634                       ; 0x24e94e02
	.long	3890591314                      ; 0xe7e5b652
	.long	1129119636                      ; 0x434cff94
	.long	3133886450                      ; 0xbacb4ff2
	.long	328788870                       ; 0x1398eb86
	.long	3449809720                      ; 0xcd9feb38
	.long	1380118080                      ; 0x5242ee40
	;; [unrolled: 4-line block ×5, first 2 shown]
	.long	295024253                       ; 0x1195b67d
	.long	2788334176                      ; 0xa6329a60
	.long	3430095934                      ; 0xcc731c3e
	;; [unrolled: 1-line block ×5, first 2 shown]
	.long	150555625                       ; 0x8f94be9
	.long	2270671577                      ; 0x8757b2d9
	.long	2032382533                      ; 0x7923b245
	;; [unrolled: 1-line block ×4, first 2 shown]
	.long	644811077                       ; 0x266f0945
	.long	2122632989                      ; 0x7e84cf1d
	.long	3224165725                      ; 0xc02cdd5d
	;; [unrolled: 1-line block ×6, first 2 shown]
	.long	448105905                       ; 0x1ab58db1
	.long	699188129                       ; 0x29acc3a1
	.long	2017324335                      ; 0x783ded2f
	.long	4286307548                      ; 0xff7bdcdc
	;; [unrolled: 1-line block ×9, first 2 shown]
	.long	982315917                       ; 0x3a8cf38d
	.long	2614735561                      ; 0x9bd9b2c9
	.long	2439972944                      ; 0x916f0850
	;; [unrolled: 1-line block ×10, first 2 shown]
	.long	433233786                       ; 0x19d29f7a
	.long	3750002877                      ; 0xdf8480bd
	.long	2504731459                      ; 0x954b2b43
	;; [unrolled: 1-line block ×11, first 2 shown]
	.long	426635932                       ; 0x196df29c
	.long	2034644068                      ; 0x79463464
	.long	725679489                       ; 0x2b40fd81
	.long	3705541400                      ; 0xdcde1318
	.long	1308182381                      ; 0x4df9476d
	.long	27549785                        ; 0x1a46059
	.long	3001720496                      ; 0xb2ea9eb0
	.long	2982141597                      ; 0xb1bfde9d
	;; [unrolled: 1-line block ×3, first 2 shown]
	.long	755020243                       ; 0x2d00b1d3
	.long	3986354189                      ; 0xed9af00d
	.long	307638580                       ; 0x12563134
	.long	452574019                       ; 0x1af9bb43
	.long	2384876926                      ; 0x8e26557e
	.long	2147764179                      ; 0x800447d3
	;; [unrolled: 1-line block ×10, first 2 shown]
	.long	701214306                       ; 0x29cbae62
	.long	2460043371                      ; 0x92a1486b
	.long	3943376509                      ; 0xeb0b267d
	;; [unrolled: 1-line block ×4, first 2 shown]
	.long	859309333                       ; 0x33380515
	.long	2928621220                      ; 0xae8f36a4
	.long	1933644685                      ; 0x7341138d
	;; [unrolled: 1-line block ×5, first 2 shown]
	.long	790233558                       ; 0x2f1a01d6
	.long	2517540072                      ; 0x960e9ce8
	.long	481283060                       ; 0x1cafcbf4
	.long	2952921690                      ; 0xb002025a
	.long	3295251862                      ; 0xc4698d96
	;; [unrolled: 1-line block ×7, first 2 shown]
	.long	67684812                        ; 0x408c9cc
	.long	4019593497                      ; 0xef962119
	.long	3290479436                      ; 0xc420bb4c
	;; [unrolled: 1-line block ×3, first 2 shown]
	.long	51111285                        ; 0x30be575
	.long	15338687                        ; 0xea0cbf
	.long	3779021741                      ; 0xe13f4bad
	.long	1430944862                      ; 0x554a7c5e
	.long	70037785                        ; 0x42cb119
	.long	2009147353                      ; 0x77c127d9
	.long	4236701871                      ; 0xfc86f0af
	.long	928261128                       ; 0x37542408
	.long	2063919641                      ; 0x7b04ea19
	.long	2793993680                      ; 0xa688f5d0
	;; [unrolled: 1-line block ×7, first 2 shown]
	.long	509071385                       ; 0x1e57d019
	.long	2056228251                      ; 0x7a8f8d9b
	.long	4034784810                      ; 0xf07dee2a
	;; [unrolled: 1-line block ×3, first 2 shown]
	.long	169863045                       ; 0xa1fe785
	.long	932848332                       ; 0x379a22cc
	.long	2282651407                      ; 0x880e7f0f
	.long	747279843                       ; 0x2c8a95e3
	.long	3712980941                      ; 0xdd4f97cd
	.long	2410099142                      ; 0x8fa731c6
	;; [unrolled: 1-line block ×8, first 2 shown]
	.long	249137656                       ; 0xed989f8
	.long	2477445202                      ; 0x93aad052
	.long	3374467273                      ; 0xc92248c9
	.long	392730170                       ; 0x1768963a
	.long	4208559971                      ; 0xfad98763
	.long	24751401                        ; 0x179ad29
	.long	661761054                       ; 0x2771ac1e
	.long	1670592959                      ; 0x639339bf
	.long	2715927647                      ; 0xa1e1c45f
	.long	985309803                       ; 0x3abaa26b
	.long	2570053358                      ; 0x992fe6ee
	.long	619269634                       ; 0x24e94e02
	.long	830547082                       ; 0x3181248a
	.long	1129119636                      ; 0x434cff94
	.long	3133886450                      ; 0xbacb4ff2
	.long	328788870                       ; 0x1398eb86
	.long	3449809720                      ; 0xcd9feb38
	.long	202644333                       ; 0xc141b6d
	;; [unrolled: 2-line block ×3, first 2 shown]
	.long	3487733607                      ; 0xcfe29767
	.long	3819095050                      ; 0xe3a2c40a
	;; [unrolled: 1-line block ×3, first 2 shown]
	.long	709089170                       ; 0x2a43d792
	.long	1057897966                      ; 0x3f0e3dee
	.long	1938975941                      ; 0x73926cc5
	;; [unrolled: 1-line block ×6, first 2 shown]
	.long	295024253                       ; 0x1195b67d
	.long	2788334176                      ; 0xa6329a60
	.long	1219456                         ; 0x129b80
	.long	3641758945                      ; 0xd910d4e1
	.long	2029993123                      ; 0x78ff3ca3
	;; [unrolled: 1-line block ×3, first 2 shown]
	.long	150555625                       ; 0x8f94be9
	.long	3713963210                      ; 0xdd5e94ca
	.long	2032382533                      ; 0x7923b245
	;; [unrolled: 1-line block ×4, first 2 shown]
	.long	644811077                       ; 0x266f0945
	.long	3733090890                      ; 0xde82724a
	.long	3224165725                      ; 0xc02cdd5d
	;; [unrolled: 1-line block ×6, first 2 shown]
	.long	448105905                       ; 0x1ab58db1
	.long	699188129                       ; 0x29acc3a1
	.long	2017324335                      ; 0x783ded2f
	.long	4286307548                      ; 0xff7bdcdc
	;; [unrolled: 1-line block ×9, first 2 shown]
	.long	982315917                       ; 0x3a8cf38d
	.long	2614735561                      ; 0x9bd9b2c9
	.long	2439972944                      ; 0x916f0850
	;; [unrolled: 1-line block ×10, first 2 shown]
	.long	433233786                       ; 0x19d29f7a
	.long	3750002877                      ; 0xdf8480bd
	.long	625648993                       ; 0x254aa561
	.long	1111327015                      ; 0x423d8127
	.long	3975736867                      ; 0xecf8ee23
	;; [unrolled: 1-line block ×11, first 2 shown]
	.long	725679489                       ; 0x2b40fd81
	.long	3705541400                      ; 0xdcde1318
	.long	1308182381                      ; 0x4df9476d
	.long	212242504                       ; 0xca69048
	.long	3001720496                      ; 0xb2ea9eb0
	.long	2982141597                      ; 0xb1bfde9d
	;; [unrolled: 1-line block ×3, first 2 shown]
	.long	755020243                       ; 0x2d00b1d3
	.long	2510536004                      ; 0x95a3bd44
	.long	307638580                       ; 0x12563134
	.long	452574019                       ; 0x1af9bb43
	.long	2384876926                      ; 0x8e26557e
	.long	2147764179                      ; 0x800447d3
	;; [unrolled: 1-line block ×10, first 2 shown]
	.long	701214306                       ; 0x29cbae62
	.long	2460043371                      ; 0x92a1486b
	.long	381309305                       ; 0x16ba5179
	.long	2084857792                      ; 0x7c4467c0
	.long	2481277520                      ; 0x93e54a50
	.long	859309333                       ; 0x33380515
	.long	2928621220                      ; 0xae8f36a4
	.long	891630344                       ; 0x35253308
	.long	4152646669                      ; 0xf7845c0d
	.long	3310629548                      ; 0xc55432ac
	;; [unrolled: 1-line block ×3, first 2 shown]
	.long	790233558                       ; 0x2f1a01d6
	.long	1490030690                      ; 0x58d01062
	.long	481283060                       ; 0x1cafcbf4
	.long	2952921690                      ; 0xb002025a
	.long	3295251862                      ; 0xc4698d96
	;; [unrolled: 1-line block ×7, first 2 shown]
	.long	67684812                        ; 0x408c9cc
	.long	2217081575                      ; 0x8425fae7
	.long	3290479436                      ; 0xc420bb4c
	;; [unrolled: 1-line block ×3, first 2 shown]
	.long	51111285                        ; 0x30be575
	.long	15338687                        ; 0xea0cbf
	.long	3455020635                      ; 0xcdef6e5b
	.long	1430944862                      ; 0x554a7c5e
	.long	70037785                        ; 0x42cb119
	.long	2009147353                      ; 0x77c127d9
	.long	4236701871                      ; 0xfc86f0af
	;; [unrolled: 1-line block ×7, first 2 shown]
	.long	403147571                       ; 0x18078b33
	.long	2373806232                      ; 0x8d7d6898
	.long	4153354125                      ; 0xf78f278d
	.long	509071385                       ; 0x1e57d019
	.long	2056228251                      ; 0x7a8f8d9b
	.long	444685935                       ; 0x1a815e6f
	;; [unrolled: 2-line block ×3, first 2 shown]
	.long	932848332                       ; 0x379a22cc
	.long	2282651407                      ; 0x880e7f0f
	.long	2077207745                      ; 0x7bcfacc1
	;; [unrolled: 1-line block ×6, first 2 shown]
	.long	640536184                       ; 0x262dce78
	.long	4262344652                      ; 0xfe0e37cc
	.long	3712420663                      ; 0xdd470b37
	;; [unrolled: 1-line block ×3, first 2 shown]
	.long	249137656                       ; 0xed989f8
	.long	368243227                       ; 0x15f2f21b
	.long	3374467273                      ; 0xc92248c9
	.long	392730170                       ; 0x1768963a
	.long	4208559971                      ; 0xfad98763
	.long	24751401                        ; 0x179ad29
	.long	495648080                       ; 0x1d8afd50
	.long	1670592959                      ; 0x639339bf
	.long	2715927647                      ; 0xa1e1c45f
	.long	985309803                       ; 0x3abaa26b
	.long	2570053358                      ; 0x992fe6ee
	.long	2181488546                      ; 0x8206dfa2
	;; [unrolled: 3-line block ×3, first 2 shown]
	.long	328788870                       ; 0x1398eb86
	.long	2497762979                      ; 0x94e0d6a3
	.long	202644333                       ; 0xc141b6d
	.long	2719792059                      ; 0xa21cbbbb
	;; [unrolled: 2-line block ×3, first 2 shown]
	.long	1976943620                      ; 0x75d5c404
	.long	1400269159                      ; 0x53766967
	.long	709089170                       ; 0x2a43d792
	.long	1057897966                      ; 0x3f0e3dee
	.long	1938975941                      ; 0x73926cc5
	;; [unrolled: 1-line block ×6, first 2 shown]
	.long	295024253                       ; 0x1195b67d
	.long	1440317859                      ; 0x55d981a3
	.long	1219456                         ; 0x129b80
	.long	3641758945                      ; 0xd910d4e1
	.long	2029993123                      ; 0x78ff3ca3
	;; [unrolled: 1-line block ×3, first 2 shown]
	.long	952956380                       ; 0x38ccf5dc
	.long	3713963210                      ; 0xdd5e94ca
	.long	2032382533                      ; 0x7923b245
	.long	2088497043                      ; 0x7c7bef93
	.long	1392075576                      ; 0x52f96338
	.long	4180475645                      ; 0xf92cfefd
	.long	3733090890                      ; 0xde82724a
	.long	3224165725                      ; 0xc02cdd5d
	.long	1571908345                      ; 0x5db16af9
	.long	2558692460                      ; 0x98828c6c
	.long	3482549931                      ; 0xcf937eab
	.long	1678929187                      ; 0x64126d23
	.long	448105905                       ; 0x1ab58db1
	.long	699188129                       ; 0x29acc3a1
	.long	2017324335                      ; 0x783ded2f
	.long	2431113987                      ; 0x90e7db03
	;; [unrolled: 1-line block ×9, first 2 shown]
	.long	982315917                       ; 0x3a8cf38d
	.long	2614735561                      ; 0x9bd9b2c9
	.long	1128074864                      ; 0x433d0e70
	;; [unrolled: 1-line block ×10, first 2 shown]
	.long	433233786                       ; 0x19d29f7a
	.long	2927295412                      ; 0xae7afbb4
	.long	625648993                       ; 0x254aa561
	.long	1111327015                      ; 0x423d8127
	.long	3975736867                      ; 0xecf8ee23
	;; [unrolled: 1-line block ×3, first 2 shown]
	.long	259216032                       ; 0xf7352a0
	.long	1349560774                      ; 0x5070a9c6
	.long	3521430425                      ; 0xd1e4c399
	.long	2827154828                      ; 0xa882f58c
	.long	1067483357                      ; 0x3fa080dd
	.long	989690947                       ; 0x3afd7c43
	.long	2808148912                      ; 0xa760f3b0
	.long	2034644068                      ; 0x79463464
	.long	725679489                       ; 0x2b40fd81
	.long	3705541400                      ; 0xdcde1318
	.long	588787520                       ; 0x23182f40
	.long	212242504                       ; 0xca69048
	.long	3001720496                      ; 0xb2ea9eb0
	.long	2982141597                      ; 0xb1bfde9d
	;; [unrolled: 1-line block ×5, first 2 shown]
	.long	307638580                       ; 0x12563134
	.long	452574019                       ; 0x1af9bb43
	.long	2384876926                      ; 0x8e26557e
	.long	3536994565                      ; 0xd2d24105
	;; [unrolled: 1-line block ×6, first 2 shown]
	.long	463890041                       ; 0x1ba66679
	.long	1054678914                      ; 0x3edd1f82
	.long	2659043235                      ; 0x9e7dc7a3
	;; [unrolled: 1-line block ×3, first 2 shown]
	.long	701214306                       ; 0x29cbae62
	.long	3085494195                      ; 0xb7e8e7b3
	.long	381309305                       ; 0x16ba5179
	.long	2084857792                      ; 0x7c4467c0
	.long	2481277520                      ; 0x93e54a50
	.long	859309333                       ; 0x33380515
	.long	3760199179                      ; 0xe020160b
	.long	891630344                       ; 0x35253308
	.long	4152646669                      ; 0xf7845c0d
	.long	3310629548                      ; 0xc55432ac
	;; [unrolled: 1-line block ×5, first 2 shown]
	.long	481283060                       ; 0x1cafcbf4
	.long	2952921690                      ; 0xb002025a
	.long	3295251862                      ; 0xc4698d96
	;; [unrolled: 1-line block ×7, first 2 shown]
	.long	339445869                       ; 0x143b886d
	.long	2217081575                      ; 0x8425fae7
	.long	3290479436                      ; 0xc420bb4c
	;; [unrolled: 1-line block ×3, first 2 shown]
	.long	51111285                        ; 0x30be575
	.long	1113202216                      ; 0x425a1e28
	.long	3455020635                      ; 0xcdef6e5b
	;; [unrolled: 1-line block ×3, first 2 shown]
	.long	70037785                        ; 0x42cb119
	.long	2009147353                      ; 0x77c127d9
	.long	3982848623                      ; 0xed65726f
	;; [unrolled: 1-line block ×7, first 2 shown]
	.long	403147571                       ; 0x18078b33
	.long	2373806232                      ; 0x8d7d6898
	.long	4153354125                      ; 0xf78f278d
	.long	509071385                       ; 0x1e57d019
	.long	1474832043                      ; 0x57e826ab
	.long	444685935                       ; 0x1a815e6f
	;; [unrolled: 2-line block ×3, first 2 shown]
	.long	932848332                       ; 0x379a22cc
	.long	1500855137                      ; 0x59753b61
	.long	2077207745                      ; 0x7bcfacc1
	;; [unrolled: 1-line block ×6, first 2 shown]
	.long	640536184                       ; 0x262dce78
	.long	4262344652                      ; 0xfe0e37cc
	.long	3712420663                      ; 0xdd470b37
	;; [unrolled: 1-line block ×4, first 2 shown]
	.long	368243227                       ; 0x15f2f21b
	.long	3374467273                      ; 0xc92248c9
	.long	392730170                       ; 0x1768963a
	.long	4208559971                      ; 0xfad98763
	.long	108468246                       ; 0x6771816
	.long	495648080                       ; 0x1d8afd50
	.long	1670592959                      ; 0x639339bf
	.long	2715927647                      ; 0xa1e1c45f
	.long	985309803                       ; 0x3abaa26b
	.long	61959589                        ; 0x3b16da5
	.long	2181488546                      ; 0x8206dfa2
	.long	830547082                       ; 0x3181248a
	.long	1129119636                      ; 0x434cff94
	.long	3133886450                      ; 0xbacb4ff2
	;; [unrolled: 1-line block ×4, first 2 shown]
	.long	202644333                       ; 0xc141b6d
	.long	2719792059                      ; 0xa21cbbbb
	.long	691527418                       ; 0x2937defa
	.long	1984193076                      ; 0x76446234
	.long	1976943620                      ; 0x75d5c404
	;; [unrolled: 1-line block ×3, first 2 shown]
	.long	709089170                       ; 0x2a43d792
	.long	1057897966                      ; 0x3f0e3dee
	.long	2381612490                      ; 0x8df485ca
	.long	2071351862                      ; 0x7b765236
	.long	3393893128                      ; 0xca4ab308
	.long	3083496965                      ; 0xb7ca6e05
	.long	1040123365                      ; 0x3dff05e5
	.long	391784014                       ; 0x175a264e
	.long	1440317859                      ; 0x55d981a3
	.long	1219456                         ; 0x129b80
	.long	3641758945                      ; 0xd910d4e1
	.long	2029993123                      ; 0x78ff3ca3
	;; [unrolled: 1-line block ×3, first 2 shown]
	.long	952956380                       ; 0x38ccf5dc
	.long	3713963210                      ; 0xdd5e94ca
	.long	2032382533                      ; 0x7923b245
	;; [unrolled: 1-line block ×3, first 2 shown]
	.long	135943164                       ; 0x81a53fc
	.long	4180475645                      ; 0xf92cfefd
	.long	3733090890                      ; 0xde82724a
	;; [unrolled: 1-line block ×7, first 2 shown]
	.long	448105905                       ; 0x1ab58db1
	.long	699188129                       ; 0x29acc3a1
	.long	4104693318                      ; 0xf4a8a646
	.long	2431113987                      ; 0x90e7db03
	;; [unrolled: 1-line block ×5, first 2 shown]
	.long	113762138                       ; 0x6c7df5a
	.long	1900625235                      ; 0x71493d53
	.long	3233347584                      ; 0xc0b8f800
	;; [unrolled: 1-line block ×3, first 2 shown]
	.long	982315917                       ; 0x3a8cf38d
	.long	599246177                       ; 0x23b7c561
	.long	1128074864                      ; 0x433d0e70
	.long	4172908214                      ; 0xf8b986b6
	;; [unrolled: 1-line block ×10, first 2 shown]
	.long	866296319                       ; 0x33a2a1ff
	.long	1169380319                      ; 0x45b353df
	.long	2919436659                      ; 0xae031173
	;; [unrolled: 1-line block ×9, first 2 shown]
	.long	269175192                       ; 0x100b4998
	.long	3826888026                      ; 0xe419ad5a
	.long	3430363541                      ; 0xcc773195
	;; [unrolled: 1-line block ×3, first 2 shown]
	.long	51532769                        ; 0x31253e1
	.long	2919489927                      ; 0xae03e187
	.long	1568325914                      ; 0x5d7ac11a
	;; [unrolled: 1-line block ×3, first 2 shown]
	.long	43519013                        ; 0x2980c25
	.long	2108988015                      ; 0x7db49a6f
	.long	1398495041                      ; 0x535b5741
	;; [unrolled: 1-line block ×14, first 2 shown]
	.long	913700780                       ; 0x3675f7ac
	.long	2382994726                      ; 0x8e099d26
	.long	4292849877                      ; 0xffdfb0d5
	;; [unrolled: 1-line block ×3, first 2 shown]
	.long	250258264                       ; 0xeeaa358
	.long	1828569640                      ; 0x6cfdc228
	.long	1732718872                      ; 0x67473118
	.long	1869949326                      ; 0x6f75298e
	.long	835188347                       ; 0x31c7f67b
	.long	4180489913                      ; 0xf92d36b9
	.long	3049522050                      ; 0xb5c40382
	.long	535168392                       ; 0x1fe60588
	.long	3972173823                      ; 0xecc28fff
	.long	2763844722                      ; 0xa4bcec72
	;; [unrolled: 1-line block ×4, first 2 shown]
	.long	851518496                       ; 0x32c12420
	.long	1015521371                      ; 0x3c87a05b
	.long	1511969218                      ; 0x5a1ed1c2
	;; [unrolled: 1-line block ×6, first 2 shown]
	.long	552856274                       ; 0x20f3ead2
	.long	4059179808                      ; 0xf1f22b20
	.long	175647012                       ; 0xa782924
	.long	3893497501                      ; 0xe8120e9d
	.long	1805118717                      ; 0x6b97ecfd
	;; [unrolled: 1-line block ×6, first 2 shown]
	.long	279868399                       ; 0x10ae73ef
	.long	1926726615                      ; 0x72d783d7
	.long	2773068510                      ; 0xa549aade
	.long	347721208                       ; 0x14b9cdf8
	.long	4099183723                      ; 0xf454946b
	.long	509136218                       ; 0x1e58cd5a
	.long	2833615756                      ; 0xa8e58b8c
	.long	3960499694                      ; 0xec106dee
	;; [unrolled: 1-line block ×4, first 2 shown]
	.long	535748563                       ; 0x1feedfd3
	.long	354515646                       ; 0x15217abe
	.long	3307314159                      ; 0xc5219bef
	.long	3160079941                      ; 0xbc5afe45
	;; [unrolled: 1-line block ×6, first 2 shown]
	.long	899056999                       ; 0x35968567
	.long	2531772068                      ; 0x96e7c6a4
	.long	647726503                       ; 0x269b85a7
	.long	2895823632                      ; 0xac9ac310
	;; [unrolled: 2-line block ×3, first 2 shown]
	.long	2363148604                      ; 0x8cdac93c
	.long	2931477989                      ; 0xaebacde5
	;; [unrolled: 1-line block ×5, first 2 shown]
	.long	557544627                       ; 0x213b74b3
	.long	273611522                       ; 0x104efb02
	.long	2717517554                      ; 0xa1fa06f2
	.long	1935966767                      ; 0x7364822f
	;; [unrolled: 1-line block ×3, first 2 shown]
	.long	29153600                        ; 0x1bcd940
	.long	20993454                        ; 0x14055ae
	.long	3758163226                      ; 0xe001051a
	.long	1692844400                      ; 0x64e6c170
	.long	2176938194                      ; 0x81c170d2
	.long	378940221                       ; 0x16962b3d
	.long	2888599759                      ; 0xac2c88cf
	.long	1173120554                      ; 0x45ec662a
	.long	2732575460                      ; 0xa2dfcae4
	.long	3912766812                      ; 0xe938155c
	.long	522606644                       ; 0x1f265834
	.long	1925230852                      ; 0x72c0b104
	;; [unrolled: 5-line block ×3, first 2 shown]
	.long	2970467682                      ; 0xb10dbd62
	.long	3039277863                      ; 0xb527b327
	.long	990580154                       ; 0x3b0b0dba
	.long	55435595                        ; 0x34de14b
	.long	1665634070                      ; 0x63478f16
	.long	3043418336                      ; 0xb566e0e0
	;; [unrolled: 1-line block ×9, first 2 shown]
	.long	463637252                       ; 0x1ba28b04
	.long	3768636616                      ; 0xe0a0d4c8
	.long	3374572388                      ; 0xc923e364
	;; [unrolled: 1-line block ×3, first 2 shown]
	.long	791988933                       ; 0x2f34cac5
	.long	382210765                       ; 0x16c812cd
	.long	1715859444                      ; 0x6645eff4
	.long	3462446413                      ; 0xce60bd4d
	.long	971427992                       ; 0x39e6d098
	.long	3255404695                      ; 0xc2098897
	.long	2001750035                      ; 0x77504813
	;; [unrolled: 1-line block ×3, first 2 shown]
	.long	320812374                       ; 0x131f3556
	.long	3688098101                      ; 0xdbd3e935
	.long	920365480                       ; 0x36dba9a8
	.long	2819401059                      ; 0xa80ca563
	.long	2932570681                      ; 0xaecb7a39
	;; [unrolled: 1-line block ×3, first 2 shown]
	.long	523943786                       ; 0x1f3abf6a
	.long	1271514748                      ; 0x4bc9c67c
	.long	4078439472                      ; 0xf3180c30
	;; [unrolled: 1-line block ×11, first 2 shown]
	.size	_ZL31d_xorwow_sequence_jump_matrices, 102400

	.type	_ZL22d_xorwow_jump_matrices,@object ; @_ZL22d_xorwow_jump_matrices
	.p2align	4, 0x0
_ZL22d_xorwow_jump_matrices:
	.long	0                               ; 0x0
	.long	0                               ; 0x0
	;; [unrolled: 1-line block ×14, first 2 shown]
	.long	15                              ; 0xf
	.long	0                               ; 0x0
	.long	0                               ; 0x0
	.long	0                               ; 0x0
	.long	0                               ; 0x0
	.long	30                              ; 0x1e
	.long	0                               ; 0x0
	.long	0                               ; 0x0
	.long	0                               ; 0x0
	.long	0                               ; 0x0
	;; [unrolled: 5-line block ×3, first 2 shown]
	.long	120                             ; 0x78
	.long	0                               ; 0x0
	.long	0                               ; 0x0
	.long	0                               ; 0x0
	.long	0                               ; 0x0
	.long	240                             ; 0xf0
	.long	0                               ; 0x0
	.long	0                               ; 0x0
	.long	0                               ; 0x0
	.long	0                               ; 0x0
	;; [unrolled: 5-line block ×4, first 2 shown]
	.long	1920                            ; 0x780
	.long	0                               ; 0x0
	.long	0                               ; 0x0
	.long	0                               ; 0x0
	.long	0                               ; 0x0
	.long	3840                            ; 0xf00
	.long	0                               ; 0x0
	.long	0                               ; 0x0
	.long	0                               ; 0x0
	.long	0                               ; 0x0
	.long	7680                            ; 0x1e00
	.long	0                               ; 0x0
	.long	0                               ; 0x0
	.long	0                               ; 0x0
	.long	0                               ; 0x0
	.long	15360                           ; 0x3c00
	.long	0                               ; 0x0
	.long	0                               ; 0x0
	.long	0                               ; 0x0
	.long	0                               ; 0x0
	.long	30720                           ; 0x7800
	.long	0                               ; 0x0
	.long	0                               ; 0x0
	.long	0                               ; 0x0
	.long	0                               ; 0x0
	.long	61440                           ; 0xf000
	.long	0                               ; 0x0
	.long	0                               ; 0x0
	.long	0                               ; 0x0
	.long	0                               ; 0x0
	.long	122880                          ; 0x1e000
	.long	0                               ; 0x0
	.long	0                               ; 0x0
	.long	0                               ; 0x0
	.long	0                               ; 0x0
	.long	245760                          ; 0x3c000
	.long	0                               ; 0x0
	.long	0                               ; 0x0
	.long	0                               ; 0x0
	.long	0                               ; 0x0
	;; [unrolled: 5-line block ×4, first 2 shown]
	.long	1966080                         ; 0x1e0000
	.long	0                               ; 0x0
	.long	0                               ; 0x0
	.long	0                               ; 0x0
	.long	0                               ; 0x0
	.long	3932160                         ; 0x3c0000
	.long	0                               ; 0x0
	.long	0                               ; 0x0
	.long	0                               ; 0x0
	.long	0                               ; 0x0
	;; [unrolled: 5-line block ×3, first 2 shown]
	.long	15728640                        ; 0xf00000
	.long	0                               ; 0x0
	.long	0                               ; 0x0
	.long	0                               ; 0x0
	.long	0                               ; 0x0
	.long	31457280                        ; 0x1e00000
	.long	0                               ; 0x0
	.long	0                               ; 0x0
	.long	0                               ; 0x0
	.long	0                               ; 0x0
	;; [unrolled: 5-line block ×3, first 2 shown]
	.long	125829120                       ; 0x7800000
	.long	0                               ; 0x0
	.long	0                               ; 0x0
	.long	0                               ; 0x0
	.long	0                               ; 0x0
	.long	251658240                       ; 0xf000000
	.long	0                               ; 0x0
	.long	0                               ; 0x0
	.long	0                               ; 0x0
	.long	0                               ; 0x0
	.long	503316480                       ; 0x1e000000
	.long	0                               ; 0x0
	.long	0                               ; 0x0
	.long	0                               ; 0x0
	.long	0                               ; 0x0
	.long	1006632960                      ; 0x3c000000
	.long	0                               ; 0x0
	.long	0                               ; 0x0
	.long	0                               ; 0x0
	.long	0                               ; 0x0
	.long	2013265920                      ; 0x78000000
	.long	0                               ; 0x0
	.long	0                               ; 0x0
	.long	0                               ; 0x0
	.long	0                               ; 0x0
	;; [unrolled: 5-line block ×4, first 2 shown]
	.long	0                               ; 0x0
	.long	2                               ; 0x2
	;; [unrolled: 1-line block ×16, first 2 shown]
	.long	16                              ; 0x10
	.long	0                               ; 0x0
	.long	0                               ; 0x0
	.long	0                               ; 0x0
	.long	0                               ; 0x0
	.long	32                              ; 0x20
	.long	0                               ; 0x0
	.long	0                               ; 0x0
	.long	0                               ; 0x0
	.long	0                               ; 0x0
	;; [unrolled: 5-line block ×3, first 2 shown]
	.long	128                             ; 0x80
	.long	0                               ; 0x0
	.long	0                               ; 0x0
	.long	0                               ; 0x0
	.long	0                               ; 0x0
	.long	256                             ; 0x100
	.long	0                               ; 0x0
	.long	0                               ; 0x0
	.long	0                               ; 0x0
	.long	0                               ; 0x0
	;; [unrolled: 5-line block ×3, first 2 shown]
	.long	1024                            ; 0x400
	.long	0                               ; 0x0
	.long	0                               ; 0x0
	.long	0                               ; 0x0
	.long	0                               ; 0x0
	.long	2048                            ; 0x800
	.long	0                               ; 0x0
	.long	0                               ; 0x0
	.long	0                               ; 0x0
	.long	0                               ; 0x0
	;; [unrolled: 5-line block ×4, first 2 shown]
	.long	16384                           ; 0x4000
	.long	0                               ; 0x0
	.long	0                               ; 0x0
	.long	0                               ; 0x0
	.long	0                               ; 0x0
	.long	32768                           ; 0x8000
	.long	0                               ; 0x0
	.long	0                               ; 0x0
	.long	0                               ; 0x0
	.long	0                               ; 0x0
	;; [unrolled: 5-line block ×3, first 2 shown]
	.long	131072                          ; 0x20000
	.long	0                               ; 0x0
	.long	0                               ; 0x0
	.long	0                               ; 0x0
	.long	0                               ; 0x0
	.long	262144                          ; 0x40000
	.long	0                               ; 0x0
	.long	0                               ; 0x0
	.long	0                               ; 0x0
	.long	0                               ; 0x0
	;; [unrolled: 5-line block ×3, first 2 shown]
	.long	1048576                         ; 0x100000
	.long	0                               ; 0x0
	.long	0                               ; 0x0
	.long	0                               ; 0x0
	.long	0                               ; 0x0
	.long	2097152                         ; 0x200000
	.long	0                               ; 0x0
	.long	0                               ; 0x0
	.long	0                               ; 0x0
	.long	0                               ; 0x0
	.long	4194304                         ; 0x400000
	.long	0                               ; 0x0
	.long	0                               ; 0x0
	.long	0                               ; 0x0
	.long	0                               ; 0x0
	.long	8388608                         ; 0x800000
	.long	0                               ; 0x0
	.long	0                               ; 0x0
	.long	0                               ; 0x0
	.long	0                               ; 0x0
	.long	16777216                        ; 0x1000000
	.long	0                               ; 0x0
	.long	0                               ; 0x0
	.long	0                               ; 0x0
	.long	0                               ; 0x0
	.long	33554432                        ; 0x2000000
	.long	0                               ; 0x0
	.long	0                               ; 0x0
	.long	0                               ; 0x0
	.long	0                               ; 0x0
	;; [unrolled: 5-line block ×3, first 2 shown]
	.long	134217728                       ; 0x8000000
	.long	0                               ; 0x0
	.long	0                               ; 0x0
	.long	0                               ; 0x0
	.long	0                               ; 0x0
	.long	268435456                       ; 0x10000000
	.long	0                               ; 0x0
	.long	0                               ; 0x0
	.long	0                               ; 0x0
	.long	0                               ; 0x0
	;; [unrolled: 5-line block ×3, first 2 shown]
	.long	1073741824                      ; 0x40000000
	.long	0                               ; 0x0
	.long	0                               ; 0x0
	;; [unrolled: 1-line block ×4, first 2 shown]
	.long	2147483648                      ; 0x80000000
	.long	0                               ; 0x0
	.long	0                               ; 0x0
	;; [unrolled: 1-line block ×25, first 2 shown]
	.long	16                              ; 0x10
	.long	0                               ; 0x0
	.long	0                               ; 0x0
	.long	0                               ; 0x0
	.long	0                               ; 0x0
	.long	32                              ; 0x20
	.long	0                               ; 0x0
	.long	0                               ; 0x0
	.long	0                               ; 0x0
	.long	0                               ; 0x0
	;; [unrolled: 5-line block ×3, first 2 shown]
	.long	128                             ; 0x80
	.long	0                               ; 0x0
	.long	0                               ; 0x0
	.long	0                               ; 0x0
	.long	0                               ; 0x0
	.long	256                             ; 0x100
	.long	0                               ; 0x0
	.long	0                               ; 0x0
	.long	0                               ; 0x0
	.long	0                               ; 0x0
	;; [unrolled: 5-line block ×3, first 2 shown]
	.long	1024                            ; 0x400
	.long	0                               ; 0x0
	.long	0                               ; 0x0
	.long	0                               ; 0x0
	.long	0                               ; 0x0
	.long	2048                            ; 0x800
	.long	0                               ; 0x0
	.long	0                               ; 0x0
	.long	0                               ; 0x0
	.long	0                               ; 0x0
	;; [unrolled: 5-line block ×4, first 2 shown]
	.long	16384                           ; 0x4000
	.long	0                               ; 0x0
	.long	0                               ; 0x0
	.long	0                               ; 0x0
	.long	0                               ; 0x0
	.long	32768                           ; 0x8000
	.long	0                               ; 0x0
	.long	0                               ; 0x0
	.long	0                               ; 0x0
	.long	0                               ; 0x0
	.long	65536                           ; 0x10000
	.long	0                               ; 0x0
	.long	0                               ; 0x0
	.long	0                               ; 0x0
	.long	0                               ; 0x0
	.long	131072                          ; 0x20000
	.long	0                               ; 0x0
	.long	0                               ; 0x0
	.long	0                               ; 0x0
	.long	0                               ; 0x0
	.long	262144                          ; 0x40000
	.long	0                               ; 0x0
	.long	0                               ; 0x0
	.long	0                               ; 0x0
	.long	0                               ; 0x0
	;; [unrolled: 5-line block ×3, first 2 shown]
	.long	1048576                         ; 0x100000
	.long	0                               ; 0x0
	.long	0                               ; 0x0
	.long	0                               ; 0x0
	.long	0                               ; 0x0
	.long	2097152                         ; 0x200000
	.long	0                               ; 0x0
	.long	0                               ; 0x0
	.long	0                               ; 0x0
	.long	0                               ; 0x0
	;; [unrolled: 5-line block ×4, first 2 shown]
	.long	16777216                        ; 0x1000000
	.long	0                               ; 0x0
	.long	0                               ; 0x0
	.long	0                               ; 0x0
	.long	0                               ; 0x0
	.long	33554432                        ; 0x2000000
	.long	0                               ; 0x0
	.long	0                               ; 0x0
	.long	0                               ; 0x0
	.long	0                               ; 0x0
	;; [unrolled: 5-line block ×3, first 2 shown]
	.long	134217728                       ; 0x8000000
	.long	0                               ; 0x0
	.long	0                               ; 0x0
	.long	0                               ; 0x0
	.long	0                               ; 0x0
	.long	268435456                       ; 0x10000000
	.long	0                               ; 0x0
	.long	0                               ; 0x0
	.long	0                               ; 0x0
	.long	0                               ; 0x0
	;; [unrolled: 5-line block ×3, first 2 shown]
	.long	1073741824                      ; 0x40000000
	.long	0                               ; 0x0
	.long	0                               ; 0x0
	;; [unrolled: 1-line block ×4, first 2 shown]
	.long	2147483648                      ; 0x80000000
	.long	0                               ; 0x0
	.long	0                               ; 0x0
	;; [unrolled: 1-line block ×25, first 2 shown]
	.long	16                              ; 0x10
	.long	0                               ; 0x0
	.long	0                               ; 0x0
	.long	0                               ; 0x0
	.long	0                               ; 0x0
	.long	32                              ; 0x20
	.long	0                               ; 0x0
	.long	0                               ; 0x0
	.long	0                               ; 0x0
	.long	0                               ; 0x0
	;; [unrolled: 5-line block ×3, first 2 shown]
	.long	128                             ; 0x80
	.long	0                               ; 0x0
	.long	0                               ; 0x0
	.long	0                               ; 0x0
	.long	0                               ; 0x0
	.long	256                             ; 0x100
	.long	0                               ; 0x0
	.long	0                               ; 0x0
	.long	0                               ; 0x0
	.long	0                               ; 0x0
	;; [unrolled: 5-line block ×3, first 2 shown]
	.long	1024                            ; 0x400
	.long	0                               ; 0x0
	.long	0                               ; 0x0
	.long	0                               ; 0x0
	.long	0                               ; 0x0
	.long	2048                            ; 0x800
	.long	0                               ; 0x0
	.long	0                               ; 0x0
	.long	0                               ; 0x0
	.long	0                               ; 0x0
	;; [unrolled: 5-line block ×4, first 2 shown]
	.long	16384                           ; 0x4000
	.long	0                               ; 0x0
	.long	0                               ; 0x0
	.long	0                               ; 0x0
	.long	0                               ; 0x0
	.long	32768                           ; 0x8000
	.long	0                               ; 0x0
	.long	0                               ; 0x0
	.long	0                               ; 0x0
	.long	0                               ; 0x0
	;; [unrolled: 5-line block ×3, first 2 shown]
	.long	131072                          ; 0x20000
	.long	0                               ; 0x0
	.long	0                               ; 0x0
	.long	0                               ; 0x0
	.long	0                               ; 0x0
	.long	262144                          ; 0x40000
	.long	0                               ; 0x0
	.long	0                               ; 0x0
	.long	0                               ; 0x0
	.long	0                               ; 0x0
	;; [unrolled: 5-line block ×3, first 2 shown]
	.long	1048576                         ; 0x100000
	.long	0                               ; 0x0
	.long	0                               ; 0x0
	.long	0                               ; 0x0
	.long	0                               ; 0x0
	.long	2097152                         ; 0x200000
	.long	0                               ; 0x0
	.long	0                               ; 0x0
	.long	0                               ; 0x0
	.long	0                               ; 0x0
	;; [unrolled: 5-line block ×4, first 2 shown]
	.long	16777216                        ; 0x1000000
	.long	0                               ; 0x0
	.long	0                               ; 0x0
	.long	0                               ; 0x0
	.long	0                               ; 0x0
	.long	33554432                        ; 0x2000000
	.long	0                               ; 0x0
	.long	0                               ; 0x0
	.long	0                               ; 0x0
	.long	0                               ; 0x0
	;; [unrolled: 5-line block ×3, first 2 shown]
	.long	134217728                       ; 0x8000000
	.long	0                               ; 0x0
	.long	0                               ; 0x0
	.long	0                               ; 0x0
	.long	0                               ; 0x0
	.long	268435456                       ; 0x10000000
	.long	0                               ; 0x0
	.long	0                               ; 0x0
	.long	0                               ; 0x0
	.long	0                               ; 0x0
	;; [unrolled: 5-line block ×3, first 2 shown]
	.long	1073741824                      ; 0x40000000
	.long	0                               ; 0x0
	.long	0                               ; 0x0
	;; [unrolled: 1-line block ×4, first 2 shown]
	.long	2147483648                      ; 0x80000000
	.long	0                               ; 0x0
	.long	0                               ; 0x0
	;; [unrolled: 1-line block ×6, first 2 shown]
	.long	17                              ; 0x11
	.long	0                               ; 0x0
	.long	0                               ; 0x0
	.long	0                               ; 0x0
	.long	2                               ; 0x2
	.long	34                              ; 0x22
	.long	0                               ; 0x0
	.long	0                               ; 0x0
	.long	0                               ; 0x0
	.long	4                               ; 0x4
	.long	68                              ; 0x44
	.long	0                               ; 0x0
	.long	0                               ; 0x0
	.long	0                               ; 0x0
	.long	8                               ; 0x8
	.long	136                             ; 0x88
	.long	0                               ; 0x0
	.long	0                               ; 0x0
	.long	0                               ; 0x0
	.long	16                              ; 0x10
	.long	272                             ; 0x110
	.long	0                               ; 0x0
	.long	0                               ; 0x0
	.long	0                               ; 0x0
	.long	32                              ; 0x20
	;; [unrolled: 5-line block ×3, first 2 shown]
	.long	1088                            ; 0x440
	.long	0                               ; 0x0
	.long	0                               ; 0x0
	.long	0                               ; 0x0
	.long	128                             ; 0x80
	.long	2176                            ; 0x880
	.long	0                               ; 0x0
	.long	0                               ; 0x0
	.long	0                               ; 0x0
	.long	256                             ; 0x100
	;; [unrolled: 5-line block ×3, first 2 shown]
	.long	8704                            ; 0x2200
	.long	0                               ; 0x0
	.long	0                               ; 0x0
	.long	0                               ; 0x0
	.long	1024                            ; 0x400
	.long	17408                           ; 0x4400
	.long	0                               ; 0x0
	.long	0                               ; 0x0
	.long	0                               ; 0x0
	.long	2048                            ; 0x800
	.long	34816                           ; 0x8800
	;; [unrolled: 5-line block ×3, first 2 shown]
	.long	0                               ; 0x0
	.long	0                               ; 0x0
	;; [unrolled: 1-line block ×3, first 2 shown]
	.long	8192                            ; 0x2000
	.long	139264                          ; 0x22000
	.long	0                               ; 0x0
	.long	0                               ; 0x0
	.long	0                               ; 0x0
	.long	16384                           ; 0x4000
	.long	278528                          ; 0x44000
	.long	0                               ; 0x0
	.long	0                               ; 0x0
	.long	0                               ; 0x0
	.long	32768                           ; 0x8000
	;; [unrolled: 5-line block ×3, first 2 shown]
	.long	1114112                         ; 0x110000
	.long	0                               ; 0x0
	.long	0                               ; 0x0
	.long	0                               ; 0x0
	.long	131072                          ; 0x20000
	.long	2228224                         ; 0x220000
	.long	0                               ; 0x0
	.long	0                               ; 0x0
	.long	0                               ; 0x0
	.long	262144                          ; 0x40000
	;; [unrolled: 5-line block ×3, first 2 shown]
	.long	8912896                         ; 0x880000
	.long	0                               ; 0x0
	.long	0                               ; 0x0
	.long	0                               ; 0x0
	.long	1048576                         ; 0x100000
	.long	17825792                        ; 0x1100000
	.long	0                               ; 0x0
	.long	0                               ; 0x0
	.long	0                               ; 0x0
	.long	2097152                         ; 0x200000
	.long	35651584                        ; 0x2200000
	;; [unrolled: 5-line block ×3, first 2 shown]
	.long	0                               ; 0x0
	.long	0                               ; 0x0
	;; [unrolled: 1-line block ×3, first 2 shown]
	.long	8388608                         ; 0x800000
	.long	142606336                       ; 0x8800000
	.long	0                               ; 0x0
	.long	0                               ; 0x0
	.long	0                               ; 0x0
	.long	16777216                        ; 0x1000000
	.long	285212672                       ; 0x11000000
	.long	0                               ; 0x0
	.long	0                               ; 0x0
	.long	0                               ; 0x0
	.long	33554432                        ; 0x2000000
	;; [unrolled: 5-line block ×3, first 2 shown]
	.long	1140850688                      ; 0x44000000
	.long	0                               ; 0x0
	.long	0                               ; 0x0
	;; [unrolled: 1-line block ×3, first 2 shown]
	.long	134217728                       ; 0x8000000
	.long	2281701376                      ; 0x88000000
	.long	0                               ; 0x0
	.long	0                               ; 0x0
	;; [unrolled: 1-line block ×3, first 2 shown]
	.long	268435456                       ; 0x10000000
	.long	268435456                       ; 0x10000000
	.long	0                               ; 0x0
	.long	0                               ; 0x0
	;; [unrolled: 1-line block ×3, first 2 shown]
	.long	536870912                       ; 0x20000000
	.long	536870912                       ; 0x20000000
	.long	0                               ; 0x0
	.long	0                               ; 0x0
	.long	0                               ; 0x0
	.long	1073741824                      ; 0x40000000
	.long	1073741824                      ; 0x40000000
	.long	0                               ; 0x0
	.long	0                               ; 0x0
	;; [unrolled: 1-line block ×3, first 2 shown]
	.long	2147483648                      ; 0x80000000
	.long	2147483648                      ; 0x80000000
	.long	0                               ; 0x0
	.long	3                               ; 0x3
	.long	51                              ; 0x33
	.long	771                             ; 0x303
	.long	13107                           ; 0x3333
	.long	0                               ; 0x0
	.long	6                               ; 0x6
	.long	102                             ; 0x66
	.long	1542                            ; 0x606
	.long	26214                           ; 0x6666
	.long	0                               ; 0x0
	.long	15                              ; 0xf
	.long	255                             ; 0xff
	.long	3855                            ; 0xf0f
	.long	65535                           ; 0xffff
	.long	0                               ; 0x0
	.long	30                              ; 0x1e
	.long	510                             ; 0x1fe
	.long	7710                            ; 0x1e1e
	.long	131070                          ; 0x1fffe
	.long	0                               ; 0x0
	.long	60                              ; 0x3c
	.long	1020                            ; 0x3fc
	.long	15420                           ; 0x3c3c
	.long	262140                          ; 0x3fffc
	.long	0                               ; 0x0
	.long	120                             ; 0x78
	.long	2040                            ; 0x7f8
	.long	30840                           ; 0x7878
	.long	524280                          ; 0x7fff8
	.long	0                               ; 0x0
	.long	240                             ; 0xf0
	.long	4080                            ; 0xff0
	.long	61680                           ; 0xf0f0
	.long	1048560                         ; 0xffff0
	.long	0                               ; 0x0
	.long	480                             ; 0x1e0
	.long	8160                            ; 0x1fe0
	.long	123360                          ; 0x1e1e0
	.long	2097120                         ; 0x1fffe0
	.long	0                               ; 0x0
	.long	960                             ; 0x3c0
	.long	16320                           ; 0x3fc0
	.long	246720                          ; 0x3c3c0
	.long	4194240                         ; 0x3fffc0
	.long	0                               ; 0x0
	.long	1920                            ; 0x780
	.long	32640                           ; 0x7f80
	.long	493440                          ; 0x78780
	.long	8388480                         ; 0x7fff80
	.long	0                               ; 0x0
	.long	3840                            ; 0xf00
	.long	65280                           ; 0xff00
	.long	986880                          ; 0xf0f00
	.long	16776960                        ; 0xffff00
	.long	0                               ; 0x0
	.long	7680                            ; 0x1e00
	.long	130560                          ; 0x1fe00
	.long	1973760                         ; 0x1e1e00
	.long	33553920                        ; 0x1fffe00
	.long	0                               ; 0x0
	.long	15360                           ; 0x3c00
	.long	261120                          ; 0x3fc00
	.long	3947520                         ; 0x3c3c00
	.long	67107840                        ; 0x3fffc00
	.long	0                               ; 0x0
	.long	30720                           ; 0x7800
	.long	522240                          ; 0x7f800
	.long	7895040                         ; 0x787800
	.long	134215680                       ; 0x7fff800
	.long	0                               ; 0x0
	.long	61440                           ; 0xf000
	.long	1044480                         ; 0xff000
	.long	15790080                        ; 0xf0f000
	.long	268431360                       ; 0xffff000
	.long	0                               ; 0x0
	.long	122880                          ; 0x1e000
	.long	2088960                         ; 0x1fe000
	.long	31580160                        ; 0x1e1e000
	.long	536862720                       ; 0x1fffe000
	.long	0                               ; 0x0
	.long	245760                          ; 0x3c000
	.long	4177920                         ; 0x3fc000
	.long	63160320                        ; 0x3c3c000
	.long	1073725440                      ; 0x3fffc000
	.long	0                               ; 0x0
	.long	491520                          ; 0x78000
	.long	8355840                         ; 0x7f8000
	.long	126320640                       ; 0x7878000
	.long	2147450880                      ; 0x7fff8000
	.long	0                               ; 0x0
	.long	983040                          ; 0xf0000
	.long	16711680                        ; 0xff0000
	.long	252641280                       ; 0xf0f0000
	.long	4294901760                      ; 0xffff0000
	.long	0                               ; 0x0
	.long	1966080                         ; 0x1e0000
	.long	33423360                        ; 0x1fe0000
	.long	505282560                       ; 0x1e1e0000
	.long	4294836224                      ; 0xfffe0000
	.long	0                               ; 0x0
	.long	3932160                         ; 0x3c0000
	.long	66846720                        ; 0x3fc0000
	.long	1010565120                      ; 0x3c3c0000
	.long	4294705152                      ; 0xfffc0000
	.long	0                               ; 0x0
	.long	7864320                         ; 0x780000
	.long	133693440                       ; 0x7f80000
	.long	2021130240                      ; 0x78780000
	.long	4294443008                      ; 0xfff80000
	.long	0                               ; 0x0
	.long	15728640                        ; 0xf00000
	.long	267386880                       ; 0xff00000
	.long	4042260480                      ; 0xf0f00000
	.long	4293918720                      ; 0xfff00000
	.long	0                               ; 0x0
	.long	31457280                        ; 0x1e00000
	;; [unrolled: 5-line block ×3, first 2 shown]
	.long	1069547520                      ; 0x3fc00000
	.long	3284140032                      ; 0xc3c00000
	;; [unrolled: 1-line block ×3, first 2 shown]
	.long	0                               ; 0x0
	.long	125829120                       ; 0x7800000
	.long	2139095040                      ; 0x7f800000
	.long	2273312768                      ; 0x87800000
	;; [unrolled: 1-line block ×3, first 2 shown]
	.long	0                               ; 0x0
	.long	251658240                       ; 0xf000000
	.long	4278190080                      ; 0xff000000
	.long	251658240                       ; 0xf000000
	.long	4278190080                      ; 0xff000000
	.long	0                               ; 0x0
	.long	503316480                       ; 0x1e000000
	.long	4261412864                      ; 0xfe000000
	.long	503316480                       ; 0x1e000000
	.long	4261412864                      ; 0xfe000000
	.long	0                               ; 0x0
	.long	1006632960                      ; 0x3c000000
	.long	4227858432                      ; 0xfc000000
	.long	1006632960                      ; 0x3c000000
	.long	4227858432                      ; 0xfc000000
	.long	0                               ; 0x0
	.long	2013265920                      ; 0x78000000
	.long	4160749568                      ; 0xf8000000
	.long	2013265920                      ; 0x78000000
	;; [unrolled: 5-line block ×4, first 2 shown]
	.long	3758096384                      ; 0xe0000000
	.long	0                               ; 0x0
	.long	0                               ; 0x0
	;; [unrolled: 1-line block ×3, first 2 shown]
	.long	51                              ; 0x33
	.long	771                             ; 0x303
	.long	0                               ; 0x0
	.long	0                               ; 0x0
	;; [unrolled: 1-line block ×3, first 2 shown]
	.long	102                             ; 0x66
	.long	1542                            ; 0x606
	.long	0                               ; 0x0
	.long	0                               ; 0x0
	.long	15                              ; 0xf
	.long	255                             ; 0xff
	.long	3855                            ; 0xf0f
	.long	0                               ; 0x0
	.long	0                               ; 0x0
	.long	30                              ; 0x1e
	;; [unrolled: 5-line block ×3, first 2 shown]
	.long	1020                            ; 0x3fc
	.long	15420                           ; 0x3c3c
	.long	0                               ; 0x0
	.long	0                               ; 0x0
	.long	120                             ; 0x78
	.long	2040                            ; 0x7f8
	.long	30840                           ; 0x7878
	.long	0                               ; 0x0
	.long	0                               ; 0x0
	.long	240                             ; 0xf0
	;; [unrolled: 5-line block ×3, first 2 shown]
	.long	8160                            ; 0x1fe0
	.long	123360                          ; 0x1e1e0
	.long	0                               ; 0x0
	.long	0                               ; 0x0
	.long	960                             ; 0x3c0
	.long	16320                           ; 0x3fc0
	.long	246720                          ; 0x3c3c0
	.long	0                               ; 0x0
	.long	0                               ; 0x0
	.long	1920                            ; 0x780
	.long	32640                           ; 0x7f80
	.long	493440                          ; 0x78780
	.long	0                               ; 0x0
	.long	0                               ; 0x0
	.long	3840                            ; 0xf00
	;; [unrolled: 5-line block ×3, first 2 shown]
	.long	130560                          ; 0x1fe00
	.long	1973760                         ; 0x1e1e00
	.long	0                               ; 0x0
	.long	0                               ; 0x0
	.long	15360                           ; 0x3c00
	.long	261120                          ; 0x3fc00
	.long	3947520                         ; 0x3c3c00
	.long	0                               ; 0x0
	.long	0                               ; 0x0
	.long	30720                           ; 0x7800
	;; [unrolled: 5-line block ×3, first 2 shown]
	.long	1044480                         ; 0xff000
	.long	15790080                        ; 0xf0f000
	.long	0                               ; 0x0
	.long	0                               ; 0x0
	.long	122880                          ; 0x1e000
	.long	2088960                         ; 0x1fe000
	.long	31580160                        ; 0x1e1e000
	.long	0                               ; 0x0
	.long	0                               ; 0x0
	.long	245760                          ; 0x3c000
	;; [unrolled: 5-line block ×3, first 2 shown]
	.long	8355840                         ; 0x7f8000
	.long	126320640                       ; 0x7878000
	.long	0                               ; 0x0
	.long	0                               ; 0x0
	.long	983040                          ; 0xf0000
	.long	16711680                        ; 0xff0000
	.long	252641280                       ; 0xf0f0000
	.long	0                               ; 0x0
	.long	0                               ; 0x0
	.long	1966080                         ; 0x1e0000
	.long	33423360                        ; 0x1fe0000
	.long	505282560                       ; 0x1e1e0000
	.long	0                               ; 0x0
	.long	0                               ; 0x0
	.long	3932160                         ; 0x3c0000
	.long	66846720                        ; 0x3fc0000
	.long	1010565120                      ; 0x3c3c0000
	.long	0                               ; 0x0
	.long	0                               ; 0x0
	.long	7864320                         ; 0x780000
	.long	133693440                       ; 0x7f80000
	.long	2021130240                      ; 0x78780000
	.long	0                               ; 0x0
	.long	0                               ; 0x0
	.long	15728640                        ; 0xf00000
	.long	267386880                       ; 0xff00000
	.long	4042260480                      ; 0xf0f00000
	.long	0                               ; 0x0
	.long	0                               ; 0x0
	.long	31457280                        ; 0x1e00000
	;; [unrolled: 5-line block ×3, first 2 shown]
	.long	1069547520                      ; 0x3fc00000
	.long	3284140032                      ; 0xc3c00000
	.long	0                               ; 0x0
	.long	0                               ; 0x0
	.long	125829120                       ; 0x7800000
	.long	2139095040                      ; 0x7f800000
	.long	2273312768                      ; 0x87800000
	.long	0                               ; 0x0
	.long	0                               ; 0x0
	.long	251658240                       ; 0xf000000
	.long	4278190080                      ; 0xff000000
	.long	251658240                       ; 0xf000000
	.long	0                               ; 0x0
	.long	0                               ; 0x0
	.long	503316480                       ; 0x1e000000
	.long	4261412864                      ; 0xfe000000
	.long	503316480                       ; 0x1e000000
	.long	0                               ; 0x0
	.long	0                               ; 0x0
	.long	1006632960                      ; 0x3c000000
	.long	4227858432                      ; 0xfc000000
	.long	1006632960                      ; 0x3c000000
	.long	0                               ; 0x0
	.long	0                               ; 0x0
	.long	2013265920                      ; 0x78000000
	.long	4160749568                      ; 0xf8000000
	.long	2013265920                      ; 0x78000000
	;; [unrolled: 5-line block ×4, first 2 shown]
	.long	0                               ; 0x0
	.long	0                               ; 0x0
	;; [unrolled: 1-line block ×4, first 2 shown]
	.long	51                              ; 0x33
	.long	0                               ; 0x0
	.long	0                               ; 0x0
	;; [unrolled: 1-line block ×4, first 2 shown]
	.long	102                             ; 0x66
	.long	0                               ; 0x0
	.long	0                               ; 0x0
	.long	0                               ; 0x0
	.long	15                              ; 0xf
	.long	255                             ; 0xff
	.long	0                               ; 0x0
	.long	0                               ; 0x0
	.long	0                               ; 0x0
	.long	30                              ; 0x1e
	;; [unrolled: 5-line block ×3, first 2 shown]
	.long	1020                            ; 0x3fc
	.long	0                               ; 0x0
	.long	0                               ; 0x0
	.long	0                               ; 0x0
	.long	120                             ; 0x78
	.long	2040                            ; 0x7f8
	.long	0                               ; 0x0
	.long	0                               ; 0x0
	.long	0                               ; 0x0
	.long	240                             ; 0xf0
	;; [unrolled: 5-line block ×4, first 2 shown]
	.long	16320                           ; 0x3fc0
	.long	0                               ; 0x0
	.long	0                               ; 0x0
	.long	0                               ; 0x0
	.long	1920                            ; 0x780
	.long	32640                           ; 0x7f80
	.long	0                               ; 0x0
	.long	0                               ; 0x0
	.long	0                               ; 0x0
	.long	3840                            ; 0xf00
	;; [unrolled: 5-line block ×3, first 2 shown]
	.long	130560                          ; 0x1fe00
	.long	0                               ; 0x0
	.long	0                               ; 0x0
	.long	0                               ; 0x0
	.long	15360                           ; 0x3c00
	.long	261120                          ; 0x3fc00
	.long	0                               ; 0x0
	.long	0                               ; 0x0
	.long	0                               ; 0x0
	.long	30720                           ; 0x7800
	;; [unrolled: 5-line block ×3, first 2 shown]
	.long	1044480                         ; 0xff000
	.long	0                               ; 0x0
	.long	0                               ; 0x0
	.long	0                               ; 0x0
	.long	122880                          ; 0x1e000
	.long	2088960                         ; 0x1fe000
	.long	0                               ; 0x0
	.long	0                               ; 0x0
	.long	0                               ; 0x0
	.long	245760                          ; 0x3c000
	;; [unrolled: 5-line block ×4, first 2 shown]
	.long	16711680                        ; 0xff0000
	.long	0                               ; 0x0
	.long	0                               ; 0x0
	.long	0                               ; 0x0
	.long	1966080                         ; 0x1e0000
	.long	33423360                        ; 0x1fe0000
	.long	0                               ; 0x0
	.long	0                               ; 0x0
	.long	0                               ; 0x0
	.long	3932160                         ; 0x3c0000
	;; [unrolled: 5-line block ×3, first 2 shown]
	.long	133693440                       ; 0x7f80000
	.long	0                               ; 0x0
	.long	0                               ; 0x0
	.long	0                               ; 0x0
	.long	15728640                        ; 0xf00000
	.long	267386880                       ; 0xff00000
	.long	0                               ; 0x0
	.long	0                               ; 0x0
	.long	0                               ; 0x0
	.long	31457280                        ; 0x1e00000
	;; [unrolled: 5-line block ×3, first 2 shown]
	.long	1069547520                      ; 0x3fc00000
	.long	0                               ; 0x0
	.long	0                               ; 0x0
	.long	0                               ; 0x0
	.long	125829120                       ; 0x7800000
	.long	2139095040                      ; 0x7f800000
	.long	0                               ; 0x0
	.long	0                               ; 0x0
	.long	0                               ; 0x0
	.long	251658240                       ; 0xf000000
	;; [unrolled: 5-line block ×3, first 2 shown]
	.long	4261412864                      ; 0xfe000000
	.long	0                               ; 0x0
	.long	0                               ; 0x0
	.long	0                               ; 0x0
	.long	1006632960                      ; 0x3c000000
	.long	4227858432                      ; 0xfc000000
	.long	0                               ; 0x0
	.long	0                               ; 0x0
	.long	0                               ; 0x0
	.long	2013265920                      ; 0x78000000
	;; [unrolled: 5-line block ×4, first 2 shown]
	.long	3758096384                      ; 0xe0000000
	.long	0                               ; 0x0
	.long	0                               ; 0x0
	;; [unrolled: 1-line block ×14, first 2 shown]
	.long	15                              ; 0xf
	.long	0                               ; 0x0
	.long	0                               ; 0x0
	.long	0                               ; 0x0
	.long	0                               ; 0x0
	.long	30                              ; 0x1e
	.long	0                               ; 0x0
	.long	0                               ; 0x0
	.long	0                               ; 0x0
	.long	0                               ; 0x0
	;; [unrolled: 5-line block ×3, first 2 shown]
	.long	120                             ; 0x78
	.long	0                               ; 0x0
	.long	0                               ; 0x0
	.long	0                               ; 0x0
	.long	0                               ; 0x0
	.long	240                             ; 0xf0
	.long	0                               ; 0x0
	.long	0                               ; 0x0
	.long	0                               ; 0x0
	.long	0                               ; 0x0
	;; [unrolled: 5-line block ×4, first 2 shown]
	.long	1920                            ; 0x780
	.long	0                               ; 0x0
	.long	0                               ; 0x0
	.long	0                               ; 0x0
	.long	0                               ; 0x0
	.long	3840                            ; 0xf00
	.long	0                               ; 0x0
	.long	0                               ; 0x0
	.long	0                               ; 0x0
	.long	0                               ; 0x0
	;; [unrolled: 5-line block ×3, first 2 shown]
	.long	15360                           ; 0x3c00
	.long	0                               ; 0x0
	.long	0                               ; 0x0
	.long	0                               ; 0x0
	.long	0                               ; 0x0
	.long	30720                           ; 0x7800
	.long	0                               ; 0x0
	.long	0                               ; 0x0
	.long	0                               ; 0x0
	.long	0                               ; 0x0
	;; [unrolled: 5-line block ×3, first 2 shown]
	.long	122880                          ; 0x1e000
	.long	0                               ; 0x0
	.long	0                               ; 0x0
	.long	0                               ; 0x0
	.long	0                               ; 0x0
	.long	245760                          ; 0x3c000
	.long	0                               ; 0x0
	.long	0                               ; 0x0
	.long	0                               ; 0x0
	.long	0                               ; 0x0
	;; [unrolled: 5-line block ×4, first 2 shown]
	.long	1966080                         ; 0x1e0000
	.long	0                               ; 0x0
	.long	0                               ; 0x0
	.long	0                               ; 0x0
	.long	0                               ; 0x0
	.long	3932160                         ; 0x3c0000
	.long	0                               ; 0x0
	.long	0                               ; 0x0
	.long	0                               ; 0x0
	.long	0                               ; 0x0
	;; [unrolled: 5-line block ×3, first 2 shown]
	.long	15728640                        ; 0xf00000
	.long	0                               ; 0x0
	.long	0                               ; 0x0
	.long	0                               ; 0x0
	.long	0                               ; 0x0
	.long	31457280                        ; 0x1e00000
	.long	0                               ; 0x0
	.long	0                               ; 0x0
	.long	0                               ; 0x0
	.long	0                               ; 0x0
	;; [unrolled: 5-line block ×3, first 2 shown]
	.long	125829120                       ; 0x7800000
	.long	0                               ; 0x0
	.long	0                               ; 0x0
	.long	0                               ; 0x0
	.long	0                               ; 0x0
	.long	251658240                       ; 0xf000000
	.long	0                               ; 0x0
	.long	0                               ; 0x0
	.long	0                               ; 0x0
	.long	0                               ; 0x0
	;; [unrolled: 5-line block ×3, first 2 shown]
	.long	1006632960                      ; 0x3c000000
	.long	0                               ; 0x0
	.long	0                               ; 0x0
	.long	0                               ; 0x0
	.long	0                               ; 0x0
	.long	2013265920                      ; 0x78000000
	.long	0                               ; 0x0
	.long	0                               ; 0x0
	.long	0                               ; 0x0
	.long	0                               ; 0x0
	;; [unrolled: 5-line block ×3, first 2 shown]
	.long	3758096384                      ; 0xe0000000
	.long	1                               ; 0x1
	.long	17                              ; 0x11
	.long	257                             ; 0x101
	.long	4369                            ; 0x1111
	.long	65537                           ; 0x10001
	.long	2                               ; 0x2
	.long	34                              ; 0x22
	.long	514                             ; 0x202
	.long	8738                            ; 0x2222
	.long	131074                          ; 0x20002
	.long	4                               ; 0x4
	.long	68                              ; 0x44
	.long	1028                            ; 0x404
	.long	17476                           ; 0x4444
	.long	262148                          ; 0x40004
	.long	8                               ; 0x8
	.long	136                             ; 0x88
	.long	2056                            ; 0x808
	.long	34952                           ; 0x8888
	.long	524296                          ; 0x80008
	.long	16                              ; 0x10
	.long	272                             ; 0x110
	.long	4112                            ; 0x1010
	.long	69904                           ; 0x11110
	.long	1048592                         ; 0x100010
	.long	32                              ; 0x20
	.long	544                             ; 0x220
	.long	8224                            ; 0x2020
	.long	139808                          ; 0x22220
	.long	2097184                         ; 0x200020
	.long	64                              ; 0x40
	.long	1088                            ; 0x440
	.long	16448                           ; 0x4040
	.long	279616                          ; 0x44440
	.long	4194368                         ; 0x400040
	.long	128                             ; 0x80
	.long	2176                            ; 0x880
	.long	32896                           ; 0x8080
	.long	559232                          ; 0x88880
	.long	8388736                         ; 0x800080
	.long	256                             ; 0x100
	.long	4352                            ; 0x1100
	.long	65792                           ; 0x10100
	.long	1118464                         ; 0x111100
	.long	16777472                        ; 0x1000100
	.long	512                             ; 0x200
	.long	8704                            ; 0x2200
	.long	131584                          ; 0x20200
	.long	2236928                         ; 0x222200
	.long	33554944                        ; 0x2000200
	.long	1024                            ; 0x400
	.long	17408                           ; 0x4400
	.long	263168                          ; 0x40400
	.long	4473856                         ; 0x444400
	.long	67109888                        ; 0x4000400
	.long	2048                            ; 0x800
	.long	34816                           ; 0x8800
	.long	526336                          ; 0x80800
	.long	8947712                         ; 0x888800
	.long	134219776                       ; 0x8000800
	.long	4096                            ; 0x1000
	.long	69632                           ; 0x11000
	.long	1052672                         ; 0x101000
	.long	17895424                        ; 0x1111000
	.long	268439552                       ; 0x10001000
	.long	8192                            ; 0x2000
	.long	139264                          ; 0x22000
	.long	2105344                         ; 0x202000
	.long	35790848                        ; 0x2222000
	.long	536879104                       ; 0x20002000
	.long	16384                           ; 0x4000
	.long	278528                          ; 0x44000
	.long	4210688                         ; 0x404000
	.long	71581696                        ; 0x4444000
	.long	1073758208                      ; 0x40004000
	.long	32768                           ; 0x8000
	.long	557056                          ; 0x88000
	.long	8421376                         ; 0x808000
	.long	143163392                       ; 0x8888000
	.long	2147516416                      ; 0x80008000
	.long	65536                           ; 0x10000
	.long	1114112                         ; 0x110000
	.long	16842752                        ; 0x1010000
	.long	286326784                       ; 0x11110000
	.long	65536                           ; 0x10000
	.long	131072                          ; 0x20000
	.long	2228224                         ; 0x220000
	.long	33685504                        ; 0x2020000
	.long	572653568                       ; 0x22220000
	.long	131072                          ; 0x20000
	.long	262144                          ; 0x40000
	.long	4456448                         ; 0x440000
	.long	67371008                        ; 0x4040000
	.long	1145307136                      ; 0x44440000
	.long	262144                          ; 0x40000
	.long	524288                          ; 0x80000
	.long	8912896                         ; 0x880000
	.long	134742016                       ; 0x8080000
	.long	2290614272                      ; 0x88880000
	.long	524288                          ; 0x80000
	.long	1048576                         ; 0x100000
	.long	17825792                        ; 0x1100000
	.long	269484032                       ; 0x10100000
	.long	286261248                       ; 0x11100000
	.long	1048576                         ; 0x100000
	.long	2097152                         ; 0x200000
	.long	35651584                        ; 0x2200000
	.long	538968064                       ; 0x20200000
	.long	572522496                       ; 0x22200000
	.long	2097152                         ; 0x200000
	.long	4194304                         ; 0x400000
	.long	71303168                        ; 0x4400000
	.long	1077936128                      ; 0x40400000
	.long	1145044992                      ; 0x44400000
	.long	4194304                         ; 0x400000
	.long	8388608                         ; 0x800000
	.long	142606336                       ; 0x8800000
	.long	2155872256                      ; 0x80800000
	.long	2290089984                      ; 0x88800000
	.long	8388608                         ; 0x800000
	.long	16777216                        ; 0x1000000
	.long	285212672                       ; 0x11000000
	.long	16777216                        ; 0x1000000
	.long	285212672                       ; 0x11000000
	.long	16777216                        ; 0x1000000
	.long	33554432                        ; 0x2000000
	.long	570425344                       ; 0x22000000
	.long	33554432                        ; 0x2000000
	.long	570425344                       ; 0x22000000
	.long	33554432                        ; 0x2000000
	.long	67108864                        ; 0x4000000
	.long	1140850688                      ; 0x44000000
	.long	67108864                        ; 0x4000000
	.long	1140850688                      ; 0x44000000
	.long	67108864                        ; 0x4000000
	.long	134217728                       ; 0x8000000
	.long	2281701376                      ; 0x88000000
	.long	134217728                       ; 0x8000000
	.long	2281701376                      ; 0x88000000
	.long	134217728                       ; 0x8000000
	.long	268435456                       ; 0x10000000
	;; [unrolled: 1-line block ×11, first 2 shown]
	.long	1073741824                      ; 0x40000000
	.long	1073741824                      ; 0x40000000
	;; [unrolled: 1-line block ×10, first 2 shown]
	.long	85009117                        ; 0x51122dd
	.long	335741939                       ; 0x140303f3
	.long	1412632518                      ; 0x54330fc6
	.long	386859243                       ; 0x170f00eb
	.long	1741437244                      ; 0x67cc393c
	.long	152139416                       ; 0x9117698
	.long	403047142                       ; 0x180602e6
	.long	2556825231                      ; 0x98660e8f
	.long	505087203                       ; 0x1e1b04e3
	.long	4287193174                      ; 0xff896056
	.long	335609039                       ; 0x1400fccf
	;; [unrolled: 5-line block ×3, first 2 shown]
	.long	3625845630                      ; 0xd81e037e
	.long	1509824181                      ; 0x59fe16b5
	;; [unrolled: 1-line block ×12, first 2 shown]
	.long	972585080                       ; 0x39f87878
	.long	2793363314                      ; 0xa67f5772
	.long	1432000919                      ; 0x555a9997
	;; [unrolled: 1-line block ×10, first 2 shown]
	.long	429603751                       ; 0x199b3ba7
	.long	359294556                       ; 0x156a665c
	.long	62915520                        ; 0x3c003c0
	.long	1069562512                      ; 0x3fc03a90
	.long	3486502860                      ; 0xcfcfcfcc
	.long	859207501                       ; 0x3336774d
	.long	3939814584                      ; 0xead4ccb8
	.long	125831040                       ; 0x7800780
	.long	2139125024                      ; 0x7f807520
	.long	2678038424                      ; 0x9f9f9f98
	;; [unrolled: 1-line block ×3, first 2 shown]
	.long	363436400                       ; 0x15a99970
	.long	251662080                       ; 0xf000f00
	.long	4278250048                      ; 0xff00ea40
	.long	1061109552                      ; 0x3f3f3f30
	;; [unrolled: 1-line block ×4, first 2 shown]
	.long	503324160                       ; 0x1e001e00
	.long	4261532800                      ; 0xfe01d480
	.long	2122219104                      ; 0x7e7e7e60
	;; [unrolled: 1-line block ×3, first 2 shown]
	.long	380003776                       ; 0x16a665c0
	.long	1006648320                      ; 0x3c003c00
	.long	4228098304                      ; 0xfc03a900
	;; [unrolled: 1-line block ×9, first 2 shown]
	.long	446273280                       ; 0x1a999700
	.long	4026593280                      ; 0xf000f000
	.long	4027491328                      ; 0xf00ea400
	.long	871625472                       ; 0x33f3f300
	.long	4254978880                      ; 0xfd9dd340
	.long	4113772032                      ; 0xf5332e00
	;; [unrolled: 1-line block ×6, first 2 shown]
	.long	711351296                       ; 0x2a665c00
	.long	3221471232                      ; 0xc003c000
	.long	3225063424                      ; 0xc03a9000
	;; [unrolled: 1-line block ×3, first 2 shown]
	.long	108481792                       ; 0x6774d00
	.long	2496444416                      ; 0x94ccb800
	.long	2147975168                      ; 0x80078000
	;; [unrolled: 1-line block ×4, first 2 shown]
	.long	485399040                       ; 0x1cee9a00
	.long	3919147008                      ; 0xe9997000
	.long	983040                          ; 0xf0000
	.long	15351808                        ; 0xea4000
	.long	255799296                       ; 0xf3f3000
	.long	3923588096                      ; 0xe9dd3400
	.long	322101248                       ; 0x1332e000
	.long	1966080                         ; 0x1e0000
	.long	299139072                       ; 0x11d48000
	.long	511598592                       ; 0x1e7e6000
	.long	3283773440                      ; 0xc3ba6800
	.long	3865427968                      ; 0xe665c000
	.long	3932160                         ; 0x3c0000
	.long	4087939072                      ; 0xf3a90000
	.long	1023197184                      ; 0x3cfcc000
	;; [unrolled: 1-line block ×3, first 2 shown]
	.long	214663168                       ; 0xccb8000
	.long	7864320                         ; 0x780000
	.long	4149346304                      ; 0xf7520000
	.long	2046394368                      ; 0x79f98000
	;; [unrolled: 1-line block ×6, first 2 shown]
	.long	871563264                       ; 0x33f30000
	.long	2916302848                      ; 0xadd34000
	.long	1932394496                      ; 0x732e0000
	.long	2447376384                      ; 0x91e00000
	.long	1833435136                      ; 0x6d480000
	.long	2011561984                      ; 0x77e60000
	.long	2342944768                      ; 0x8ba68000
	.long	643563520                       ; 0x265c0000
	.long	868220928                       ; 0x33c00000
	.long	177209344                       ; 0xa900000
	.long	4291559424                      ; 0xffcc0000
	.long	122486784                       ; 0x74d0000
	.long	2360868864                      ; 0x8cb80000
	.long	2004877312                      ; 0x77800000
	.long	85983232                        ; 0x5200000
	.long	4019716096                      ; 0xef980000
	.long	3734634496                      ; 0xde9a0000
	;; [unrolled: 1-line block ×5, first 2 shown]
	.long	254803968                       ; 0xf300000
	.long	2905866240                      ; 0xad340000
	.long	1658847232                      ; 0x62e00000
	;; [unrolled: 1-line block ×10, first 2 shown]
	.long	80740352                        ; 0x4d00000
	.long	2071986176                      ; 0x7b800000
	.long	4160749568                      ; 0xf8000000
	;; [unrolled: 1-line block ×3, first 2 shown]
	.long	964689920                       ; 0x39800000
	.long	429916160                       ; 0x19a00000
	.long	3875536896                      ; 0xe7000000
	.long	4026531840                      ; 0xf0000000
	;; [unrolled: 1-line block ×5, first 2 shown]
	.long	503316480                       ; 0x1e000000
	.long	3758096384                      ; 0xe0000000
	.long	2281701376                      ; 0x88000000
	;; [unrolled: 1-line block ×4, first 2 shown]
	.long	1316635                         ; 0x14171b
	.long	85009117                        ; 0x51122dd
	.long	335741939                       ; 0x140303f3
	.long	1412632518                      ; 0x54330fc6
	.long	386859243                       ; 0x170f00eb
	.long	1580547                         ; 0x181e03
	.long	152139416                       ; 0x9117698
	.long	403047142                       ; 0x180602e6
	.long	2556825231                      ; 0x98660e8f
	.long	505087203                       ; 0x1e1b04e3
	.long	1317672                         ; 0x141b28
	.long	335609039                       ; 0x1400fccf
	;; [unrolled: 5-line block ×3, first 2 shown]
	.long	3625845630                      ; 0xd81e037e
	.long	1509824181                      ; 0x59fe16b5
	;; [unrolled: 1-line block ×3, first 2 shown]
	.long	15612                           ; 0x3cfc
	.long	1431742057                      ; 0x5556a669
	.long	1077674236                      ; 0x403c00fc
	;; [unrolled: 1-line block ×4, first 2 shown]
	.long	31224                           ; 0x79f8
	.long	2863484114                      ; 0xaaad4cd2
	.long	1081606648                      ; 0x407801f8
	;; [unrolled: 1-line block ×3, first 2 shown]
	.long	972585080                       ; 0x39f87878
	.long	62451                           ; 0xf3f3
	.long	1432000919                      ; 0x555a9997
	.long	1089470704                      ; 0x40f000f0
	;; [unrolled: 1-line block ×4, first 2 shown]
	.long	124902                          ; 0x1e7e6
	.long	1790260014                      ; 0x6ab5332e
	.long	2178941408                      ; 0x81e001e0
	;; [unrolled: 1-line block ×4, first 2 shown]
	.long	249804                          ; 0x3cfcc
	.long	359294556                       ; 0x156a665c
	.long	62915520                        ; 0x3c003c0
	.long	1069562512                      ; 0x3fc03a90
	.long	3486502860                      ; 0xcfcfcfcc
	.long	499608                          ; 0x79f98
	.long	3939814584                      ; 0xead4ccb8
	.long	125831040                       ; 0x7800780
	.long	2139125024                      ; 0x7f807520
	.long	2678038424                      ; 0x9f9f9f98
	.long	999216                          ; 0xf3f30
	.long	363436400                       ; 0x15a99970
	.long	251662080                       ; 0xf000f00
	.long	4278250048                      ; 0xff00ea40
	.long	1061109552                      ; 0x3f3f3f30
	;; [unrolled: 1-line block ×4, first 2 shown]
	.long	503324160                       ; 0x1e001e00
	.long	4261532800                      ; 0xfe01d480
	.long	2122219104                      ; 0x7e7e7e60
	;; [unrolled: 1-line block ×3, first 2 shown]
	.long	380003776                       ; 0x16a665c0
	.long	1006648320                      ; 0x3c003c00
	.long	4228098304                      ; 0xfc03a900
	;; [unrolled: 1-line block ×9, first 2 shown]
	.long	446273280                       ; 0x1a999700
	.long	4026593280                      ; 0xf000f000
	.long	4027491328                      ; 0xf00ea400
	.long	871625472                       ; 0x33f3f300
	.long	2179458560                      ; 0x81e7e600
	.long	4113772032                      ; 0xf5332e00
	;; [unrolled: 1-line block ×5, first 2 shown]
	.long	63949824                        ; 0x3cfcc00
	.long	711351296                       ; 0x2a665c00
	.long	3221471232                      ; 0xc003c000
	.long	3225063424                      ; 0xc03a9000
	;; [unrolled: 1-line block ×3, first 2 shown]
	.long	127899648                       ; 0x79f9800
	.long	2496444416                      ; 0x94ccb800
	.long	2147975168                      ; 0x80078000
	;; [unrolled: 1-line block ×4, first 2 shown]
	.long	255799296                       ; 0xf3f3000
	.long	3919147008                      ; 0xe9997000
	.long	983040                          ; 0xf0000
	.long	15351808                        ; 0xea4000
	.long	255799296                       ; 0xf3f3000
	.long	3732824064                      ; 0xde7e6000
	.long	322101248                       ; 0x1332e000
	.long	1966080                         ; 0x1e0000
	.long	299139072                       ; 0x11d48000
	.long	511598592                       ; 0x1e7e6000
	.long	2096939008                      ; 0x7cfcc000
	.long	3865427968                      ; 0xe665c000
	.long	3932160                         ; 0x3c0000
	.long	4087939072                      ; 0xf3a90000
	.long	1023197184                      ; 0x3cfcc000
	.long	972652544                       ; 0x39f98000
	.long	214663168                       ; 0xccb8000
	.long	7864320                         ; 0x780000
	.long	4149346304                      ; 0xf7520000
	.long	2046394368                      ; 0x79f98000
	;; [unrolled: 1-line block ×6, first 2 shown]
	.long	871563264                       ; 0x33f30000
	.long	1743126528                      ; 0x67e60000
	.long	1932394496                      ; 0x732e0000
	;; [unrolled: 1-line block ×6, first 2 shown]
	.long	643563520                       ; 0x265c0000
	.long	868220928                       ; 0x33c00000
	;; [unrolled: 1-line block ×3, first 2 shown]
	.long	4291559424                      ; 0xffcc0000
	.long	2677538816                      ; 0x9f980000
	;; [unrolled: 1-line block ×4, first 2 shown]
	.long	85983232                        ; 0x5200000
	.long	4019716096                      ; 0xef980000
	.long	1060110336                      ; 0x3f300000
	;; [unrolled: 1-line block ×5, first 2 shown]
	.long	254803968                       ; 0xf300000
	.long	3193962496                      ; 0xbe600000
	.long	1658847232                      ; 0x62e00000
	;; [unrolled: 1-line block ×14, first 2 shown]
	.long	964689920                       ; 0x39800000
	.long	1929379840                      ; 0x73000000
	.long	3875536896                      ; 0xe7000000
	;; [unrolled: 1-line block ×6, first 2 shown]
	.long	503316480                       ; 0x1e000000
	.long	3758096384                      ; 0xe0000000
	.long	2281701376                      ; 0x88000000
	;; [unrolled: 1-line block ×3, first 2 shown]
	.long	332854                          ; 0x51436
	.long	1316635                         ; 0x14171b
	.long	85009117                        ; 0x51122dd
	.long	335741939                       ; 0x140303f3
	.long	1412632518                      ; 0x54330fc6
	.long	596079                          ; 0x9186f
	.long	1580547                         ; 0x181e03
	.long	152139416                       ; 0x9117698
	.long	403047142                       ; 0x180602e6
	.long	2556825231                      ; 0x98660e8f
	.long	1316075                         ; 0x1414eb
	.long	1317672                         ; 0x141b28
	.long	335609039                       ; 0x1400fccf
	.long	336528191                       ; 0x140f033f
	.long	1425998811                      ; 0x54ff03db
	.long	2824661                         ; 0x2b19d5
	.long	1574501                         ; 0x180665
	.long	724748988                       ; 0x2b32cabc
	.long	3625845630                      ; 0xd81e037e
	.long	1509824181                      ; 0x59fe16b5
	.long	5571497                         ; 0x5503a9
	.long	15612                           ; 0x3cfc
	.long	1431742057                      ; 0x5556a669
	.long	1077674236                      ; 0x403c00fc
	.long	1140592489                      ; 0x43fc0f69
	.long	11142994                        ; 0xaa0752
	.long	31224                           ; 0x79f8
	.long	2863484114                      ; 0xaaad4cd2
	.long	1081606648                      ; 0x407801f8
	.long	1207443154                      ; 0x47f81ed2
	.long	22285988                        ; 0x1540ea4
	;; [unrolled: 5-line block ×3, first 2 shown]
	.long	124902                          ; 0x1e7e6
	.long	1790260014                      ; 0x6ab5332e
	.long	2178941408                      ; 0x81e001e0
	;; [unrolled: 1-line block ×3, first 2 shown]
	.long	89143952                        ; 0x5503a90
	.long	249804                          ; 0x3cfcc
	.long	359294556                       ; 0x156a665c
	.long	62915520                        ; 0x3c003c0
	.long	1069562512                      ; 0x3fc03a90
	.long	178287904                       ; 0xaa07520
	.long	499608                          ; 0x79f98
	.long	3939814584                      ; 0xead4ccb8
	.long	125831040                       ; 0x7800780
	.long	2139125024                      ; 0x7f807520
	.long	356575808                       ; 0x1540ea40
	.long	999216                          ; 0xf3f30
	.long	363436400                       ; 0x15a99970
	.long	251662080                       ; 0xf000f00
	.long	4278250048                      ; 0xff00ea40
	.long	713151616                       ; 0x2a81d480
	.long	3223223904                      ; 0xc01e7e60
	.long	3948098272                      ; 0xeb5332e0
	.long	503324160                       ; 0x1e001e00
	.long	4261532800                      ; 0xfe01d480
	.long	1426303232                      ; 0x5503a900
	;; [unrolled: 1-line block ×3, first 2 shown]
	.long	380003776                       ; 0x16a665c0
	.long	1006648320                      ; 0x3c003c00
	.long	4228098304                      ; 0xfc03a900
	;; [unrolled: 1-line block ×9, first 2 shown]
	.long	446273280                       ; 0x1a999700
	.long	4026593280                      ; 0xf000f000
	.long	4027491328                      ; 0xf00ea400
	;; [unrolled: 1-line block ×7, first 2 shown]
	.long	272273408                       ; 0x103a9000
	.long	63949824                        ; 0x3cfcc00
	.long	711351296                       ; 0x2a665c00
	.long	3221471232                      ; 0xc003c000
	.long	3225063424                      ; 0xc03a9000
	;; [unrolled: 1-line block ×3, first 2 shown]
	.long	127899648                       ; 0x79f9800
	.long	2496444416                      ; 0x94ccb800
	.long	2147975168                      ; 0x80078000
	;; [unrolled: 1-line block ×3, first 2 shown]
	.long	15351808                        ; 0xea4000
	.long	255799296                       ; 0xf3f3000
	.long	3919147008                      ; 0xe9997000
	.long	983040                          ; 0xf0000
	.long	15351808                        ; 0xea4000
	.long	3251929088                      ; 0xc1d48000
	.long	3732824064                      ; 0xde7e6000
	.long	322101248                       ; 0x1332e000
	.long	1966080                         ; 0x1e0000
	.long	299139072                       ; 0x11d48000
	.long	1135149056                      ; 0x43a90000
	.long	2096939008                      ; 0x7cfcc000
	;; [unrolled: 1-line block ×3, first 2 shown]
	.long	3932160                         ; 0x3c0000
	.long	4087939072                      ; 0xf3a90000
	.long	1196556288                      ; 0x47520000
	.long	972652544                       ; 0x39f98000
	.long	214663168                       ; 0xccb8000
	.long	7864320                         ; 0x780000
	.long	4149346304                      ; 0xf7520000
	.long	1319370752                      ; 0x4ea40000
	;; [unrolled: 1-line block ×11, first 2 shown]
	.long	982515712                       ; 0x3a900000
	.long	3486253056                      ; 0xcfcc0000
	.long	643563520                       ; 0x265c0000
	.long	868220928                       ; 0x33c00000
	;; [unrolled: 1-line block ×3, first 2 shown]
	.long	1965031424                      ; 0x75200000
	.long	2677538816                      ; 0x9f980000
	;; [unrolled: 1-line block ×4, first 2 shown]
	.long	85983232                        ; 0x5200000
	.long	3930062848                      ; 0xea400000
	.long	1060110336                      ; 0x3f300000
	;; [unrolled: 1-line block ×27, first 2 shown]
	.long	503316480                       ; 0x1e000000
	.long	3758096384                      ; 0xe0000000
	.long	2281701376                      ; 0x88000000
	.long	5123                            ; 0x1403
	.long	332854                          ; 0x51436
	.long	1316635                         ; 0x14171b
	.long	85009117                        ; 0x51122dd
	.long	335741939                       ; 0x140303f3
	.long	6150                            ; 0x1806
	.long	596079                          ; 0x9186f
	.long	1580547                         ; 0x181e03
	.long	152139416                       ; 0x9117698
	.long	403047142                       ; 0x180602e6
	.long	5135                            ; 0x140f
	.long	1316075                         ; 0x1414eb
	.long	1317672                         ; 0x141b28
	.long	335609039                       ; 0x1400fccf
	.long	336528191                       ; 0x140f033f
	.long	6174                            ; 0x181e
	.long	2824661                         ; 0x2b19d5
	.long	1574501                         ; 0x180665
	.long	724748988                       ; 0x2b32cabc
	.long	3625845630                      ; 0xd81e037e
	.long	60                              ; 0x3c
	.long	5571497                         ; 0x5503a9
	.long	15612                           ; 0x3cfc
	.long	1431742057                      ; 0x5556a669
	.long	1077674236                      ; 0x403c00fc
	.long	120                             ; 0x78
	.long	11142994                        ; 0xaa0752
	.long	31224                           ; 0x79f8
	.long	2863484114                      ; 0xaaad4cd2
	.long	1081606648                      ; 0x407801f8
	.long	240                             ; 0xf0
	.long	22285988                        ; 0x1540ea4
	;; [unrolled: 5-line block ×3, first 2 shown]
	.long	124902                          ; 0x1e7e6
	.long	1790260014                      ; 0x6ab5332e
	.long	2178941408                      ; 0x81e001e0
	.long	960                             ; 0x3c0
	.long	89143952                        ; 0x5503a90
	.long	249804                          ; 0x3cfcc
	.long	359294556                       ; 0x156a665c
	.long	62915520                        ; 0x3c003c0
	.long	1920                            ; 0x780
	.long	178287904                       ; 0xaa07520
	.long	499608                          ; 0x79f98
	.long	3939814584                      ; 0xead4ccb8
	.long	125831040                       ; 0x7800780
	.long	3840                            ; 0xf00
	.long	356575808                       ; 0x1540ea40
	.long	999216                          ; 0xf3f30
	.long	363436400                       ; 0x15a99970
	.long	251662080                       ; 0xf000f00
	.long	7680                            ; 0x1e00
	.long	713151616                       ; 0x2a81d480
	.long	3223223904                      ; 0xc01e7e60
	.long	3948098272                      ; 0xeb5332e0
	.long	503324160                       ; 0x1e001e00
	.long	15360                           ; 0x3c00
	.long	1426303232                      ; 0x5503a900
	.long	1077738688                      ; 0x403cfcc0
	.long	380003776                       ; 0x16a665c0
	.long	1006648320                      ; 0x3c003c00
	.long	30720                           ; 0x7800
	.long	2852606464                      ; 0xaa075200
	.long	1081735552                      ; 0x4079f980
	;; [unrolled: 1-line block ×4, first 2 shown]
	.long	61440                           ; 0xf000
	.long	1410245632                      ; 0x540ea400
	.long	1089729280                      ; 0x40f3f300
	.long	446273280                       ; 0x1a999700
	.long	4026593280                      ; 0xf000f000
	.long	122880                          ; 0x1e000
	.long	1746749440                      ; 0x681d4800
	.long	2179458560                      ; 0x81e7e600
	;; [unrolled: 1-line block ×4, first 2 shown]
	.long	245760                          ; 0x3c000
	.long	272273408                       ; 0x103a9000
	.long	63949824                        ; 0x3cfcc00
	.long	711351296                       ; 0x2a665c00
	.long	3221471232                      ; 0xc003c000
	.long	491520                          ; 0x78000
	.long	3765772288                      ; 0xe0752000
	.long	127899648                       ; 0x79f9800
	.long	2496444416                      ; 0x94ccb800
	.long	2147975168                      ; 0x80078000
	.long	983040                          ; 0xf0000
	.long	15351808                        ; 0xea4000
	.long	255799296                       ; 0xf3f3000
	.long	3919147008                      ; 0xe9997000
	.long	983040                          ; 0xf0000
	.long	3223191552                      ; 0xc01e0000
	.long	3251929088                      ; 0xc1d48000
	.long	3732824064                      ; 0xde7e6000
	.long	322101248                       ; 0x1332e000
	.long	1966080                         ; 0x1e0000
	.long	1077673984                      ; 0x403c0000
	.long	1135149056                      ; 0x43a90000
	.long	2096939008                      ; 0x7cfcc000
	.long	3865427968                      ; 0xe665c000
	.long	3932160                         ; 0x3c0000
	.long	1081606144                      ; 0x40780000
	.long	1196556288                      ; 0x47520000
	.long	972652544                       ; 0x39f98000
	.long	214663168                       ; 0xccb8000
	.long	7864320                         ; 0x780000
	.long	1089470464                      ; 0x40f00000
	.long	1319370752                      ; 0x4ea40000
	;; [unrolled: 1-line block ×10, first 2 shown]
	.long	62914560                        ; 0x3c00000
	.long	982515712                       ; 0x3a900000
	.long	3486253056                      ; 0xcfcc0000
	.long	643563520                       ; 0x265c0000
	.long	868220928                       ; 0x33c00000
	;; [unrolled: 1-line block ×3, first 2 shown]
	.long	1965031424                      ; 0x75200000
	.long	2677538816                      ; 0x9f980000
	;; [unrolled: 1-line block ×4, first 2 shown]
	.long	251658240                       ; 0xf000000
	.long	3930062848                      ; 0xea400000
	.long	1060110336                      ; 0x3f300000
	;; [unrolled: 1-line block ×4, first 2 shown]
	.long	503316480                       ; 0x1e000000
	.long	3565158400                      ; 0xd4800000
	.long	3193962496                      ; 0xbe600000
	;; [unrolled: 1-line block ×22, first 2 shown]
	.long	503316480                       ; 0x1e000000
	.long	3758096384                      ; 0xe0000000
	.long	201392209                       ; 0xc010051
	.long	3423671362                      ; 0xcc111442
	;; [unrolled: 2-line block ×3, first 2 shown]
	.long	206572594                       ; 0xc500c32
	.long	402785186                       ; 0x180203a2
	.long	2552372100                      ; 0x98221b84
	.long	436928947                       ; 0x1a0b01b3
	.long	3130605370                      ; 0xba993f3a
	.long	463476848                       ; 0x1ba01870
	.long	262468                          ; 0x40144
	.long	4461835                         ; 0x44150b
	.long	68158800                        ; 0x4100550
	.long	1158700908                      ; 0x45105f6c
	.long	20971524                        ; 0x1400004
	.long	524680                          ; 0x80188
	.long	8919318                         ; 0x881916
	.long	136513955                       ; 0x82309a3
	.long	2316537326                      ; 0x8a138dee
	.long	25165852                        ; 0x180001c
	.long	3222274064                      ; 0xc0100010
	.long	3239051564                      ; 0xc110012c
	;; [unrolled: 1-line block ×10, first 2 shown]
	.long	4194368                         ; 0x400040
	.long	71304368                        ; 0x44004b0
	.long	1091846420                      ; 0x41144114
	.long	1347462055                      ; 0x5050a3a7
	.long	64                              ; 0x40
	.long	8388736                         ; 0x800080
	.long	142608736                       ; 0x8800960
	.long	2183692840                      ; 0x82288228
	.long	2694924110                      ; 0xa0a1474e
	;; [unrolled: 1-line block ×3, first 2 shown]
	.long	16777472                        ; 0x1000100
	.long	285217472                       ; 0x110012c0
	.long	72418384                        ; 0x4510450
	.long	1094880924                      ; 0x41428e9c
	.long	1342177536                      ; 0x50000100
	.long	33554944                        ; 0x2000200
	.long	570434944                       ; 0x22002580
	.long	144836768                       ; 0x8a208a0
	.long	2189761848                      ; 0x82851d38
	.long	2684355072                      ; 0xa0000200
	.long	67109888                        ; 0x4000400
	.long	1140869888                      ; 0x44004b00
	.long	289673536                       ; 0x11441140
	.long	84556400                        ; 0x50a3a70
	.long	1073742848                      ; 0x40000400
	.long	134219776                       ; 0x8000800
	.long	2281739776                      ; 0x88009600
	.long	579347072                       ; 0x22882280
	.long	169112800                       ; 0xa1474e0
	.long	2147485696                      ; 0x80000800
	.long	268439552                       ; 0x10001000
	.long	268512256                       ; 0x10012c00
	.long	1158694144                      ; 0x45104500
	.long	69790144                        ; 0x428e9c0
	.long	4096                            ; 0x1000
	.long	536879104                       ; 0x20002000
	.long	537024512                       ; 0x20025800
	.long	2317388288                      ; 0x8a208a00
	.long	3360805760                      ; 0xc851d380
	.long	8192                            ; 0x2000
	.long	1073758208                      ; 0x40004000
	.long	1074049024                      ; 0x4004b000
	.long	339809280                       ; 0x14411400
	.long	1352902400                      ; 0x50a3a700
	.long	16384                           ; 0x4000
	.long	2147516416                      ; 0x80008000
	.long	2148098048                      ; 0x80096000
	;; [unrolled: 1-line block ×4, first 2 shown]
	.long	32768                           ; 0x8000
	.long	65536                           ; 0x10000
	.long	1228800                         ; 0x12c000
	.long	17059840                        ; 0x1045000
	.long	311335936                       ; 0x128e9c00
	.long	65536                           ; 0x10000
	.long	131072                          ; 0x20000
	.long	2457600                         ; 0x258000
	.long	34119680                        ; 0x208a000
	.long	622671872                       ; 0x251d3800
	.long	131072                          ; 0x20000
	.long	262144                          ; 0x40000
	.long	4915200                         ; 0x4b0000
	.long	68239360                        ; 0x4114000
	.long	1245343744                      ; 0x4a3a7000
	.long	262144                          ; 0x40000
	.long	524288                          ; 0x80000
	.long	9830400                         ; 0x960000
	.long	136478720                       ; 0x8228000
	.long	2490687488                      ; 0x9474e000
	.long	524288                          ; 0x80000
	.long	1048576                         ; 0x100000
	.long	288096256                       ; 0x112c0000
	.long	272957440                       ; 0x10450000
	;; [unrolled: 1-line block ×3, first 2 shown]
	.long	3222274048                      ; 0xc0100000
	.long	2097152                         ; 0x200000
	.long	3797417984                      ; 0xe2580000
	.long	545914880                       ; 0x208a0000
	.long	2983428096                      ; 0xb1d38000
	.long	2149580800                      ; 0x80200000
	.long	4194304                         ; 0x400000
	.long	78643200                        ; 0x4b00000
	.long	1091829760                      ; 0x41140000
	.long	2745630720                      ; 0xa3a70000
	.long	4194304                         ; 0x400000
	.long	3229614080                      ; 0xc0800000
	.long	3378511872                      ; 0xc9600000
	;; [unrolled: 1-line block ×4, first 2 shown]
	.long	8388608                         ; 0x800000
	.long	1358954496                      ; 0x51000000
	.long	1119879168                      ; 0x42c00000
	;; [unrolled: 1-line block ×3, first 2 shown]
	.long	513540096                       ; 0x1e9c0000
	.long	16777216                        ; 0x1000000
	.long	2717908992                      ; 0xa2000000
	.long	2239758336                      ; 0x85800000
	;; [unrolled: 1-line block ×4, first 2 shown]
	.long	33554432                        ; 0x2000000
	.long	1140850688                      ; 0x44000000
	.long	184549376                       ; 0xb000000
	.long	1363148800                      ; 0x51400000
	.long	2054160384                      ; 0x7a700000
	;; [unrolled: 1-line block ×4, first 2 shown]
	.long	369098752                       ; 0x16000000
	.long	2726297600                      ; 0xa2800000
	.long	4108320768                      ; 0xf4e00000
	;; [unrolled: 1-line block ×3, first 2 shown]
	.long	268435456                       ; 0x10000000
	.long	738197504                       ; 0x2c000000
	.long	2231369728                      ; 0x85000000
	.long	968884224                       ; 0x39c00000
	.long	3959422976                      ; 0xec000000
	;; [unrolled: 2-line block ×4, first 2 shown]
	.long	3355443200                      ; 0xc8000000
	.long	1073741824                      ; 0x40000000
	;; [unrolled: 1-line block ×3, first 2 shown]
	.long	335544320                       ; 0x14000000
	.long	1728053248                      ; 0x67000000
	.long	2147483648                      ; 0x80000000
	;; [unrolled: 1-line block ×5, first 2 shown]
	.long	503316480                       ; 0x1e000000
	.long	0                               ; 0x0
	.long	1939838472                      ; 0x739f9608
	.long	1412147404                      ; 0x542ba8cc
	.long	166205219                       ; 0x9e81723
	.long	1757484276                      ; 0x68c114f4
	.long	2905930693                      ; 0xad34fbc5
	;; [unrolled: 1-line block ×4, first 2 shown]
	.long	253454719                       ; 0xf1b697f
	.long	2661974169                      ; 0x9eaa8099
	.long	303781080                       ; 0x121b54d8
	.long	4075331504                      ; 0xf2e89fb0
	.long	31014156                        ; 0x1d93d0c
	.long	244538930                       ; 0xe935e32
	.long	3752264221                      ; 0xdfa7021d
	.long	992575155                       ; 0x3b297eb3
	.long	219309525                       ; 0xd1265d5
	;; [unrolled: 1-line block ×4, first 2 shown]
	.long	4125020723                      ; 0xf5ded233
	.long	2016731730                      ; 0x7834e252
	;; [unrolled: 1-line block ×3, first 2 shown]
	.long	297169276                       ; 0x11b6717c
	.long	3293566751                      ; 0xc44fd71f
	.long	1867504216                      ; 0x6f4fda58
	.long	210423272                       ; 0xc8acde8
	.long	2531663658                      ; 0x96e61f2a
	.long	499723753                       ; 0x1dc92de9
	;; [unrolled: 2-line block ×3, first 2 shown]
	.long	3388575408                      ; 0xc9f98eb0
	.long	2433358422                      ; 0x910a1a56
	;; [unrolled: 1-line block ×10, first 2 shown]
	.long	627692776                       ; 0x2569d4e8
	.long	189423917                       ; 0xb4a612d
	.long	1927379456                      ; 0x72e17a00
	.long	4004336944                      ; 0xeead5530
	;; [unrolled: 1-line block ×11, first 2 shown]
	.long	943986992                       ; 0x38441930
	.long	3169912733                      ; 0xbcf1079d
	.long	2631635779                      ; 0x9cdb9343
	;; [unrolled: 1-line block ×10, first 2 shown]
	.long	937322456                       ; 0x37de67d8
	.long	3802094750                      ; 0xe29f5c9e
	.long	1145506936                      ; 0x44470c78
	;; [unrolled: 1-line block ×4, first 2 shown]
	.long	645739137                       ; 0x267d3281
	.long	1356219146                      ; 0x50d6430a
	.long	827886816                       ; 0x31588ce0
	.long	1722154800                      ; 0x66a5ff30
	.long	2242776733                      ; 0x85ae0e9d
	.long	754630810                       ; 0x2cfac09a
	.long	772070504                       ; 0x2e04dc68
	;; [unrolled: 1-line block ×3, first 2 shown]
	.long	2608123425                      ; 0x9b74ce21
	.long	2087201889                      ; 0x7c682c61
	;; [unrolled: 1-line block ×4, first 2 shown]
	.long	841433255                       ; 0x322740a7
	.long	477543427                       ; 0x1c76bc03
	.long	1878882709                      ; 0x6ffd7995
	.long	705347364                       ; 0x2a0abf24
	.long	4003860146                      ; 0xeea60eb2
	.long	3194913138                      ; 0xbe6e8172
	.long	2616490007                      ; 0x9bf47817
	.long	357561212                       ; 0x154ff37c
	.long	2446098297                      ; 0x91cc7f79
	.long	2955680594                      ; 0xb02c1b52
	;; [unrolled: 4-line block ×3, first 2 shown]
	.long	612108672                       ; 0x247c0980
	.long	2455017713                      ; 0x925498f1
	.long	1749147666                      ; 0x6841e012
	;; [unrolled: 1-line block ×4, first 2 shown]
	.long	499405095                       ; 0x1dc45127
	.long	1837614076                      ; 0x6d87c3fc
	.long	1227604028                      ; 0x492bc03c
	.long	714577577                       ; 0x2a9796a9
	.long	165950208                       ; 0x9e43300
	;; [unrolled: 1-line block ×5, first 2 shown]
	.long	42151250                        ; 0x2832d52
	.long	426862080                       ; 0x19716600
	.long	2810242474                      ; 0xa780e5aa
	.long	4112075489                      ; 0xf5194ae1
	;; [unrolled: 1-line block ×4, first 2 shown]
	.long	982512636                       ; 0x3a8ff3fc
	.long	500792667                       ; 0x1dd97d5b
	.long	4286077681                      ; 0xff785af1
	.long	198050301                       ; 0xbce01fd
	.long	1858712743                      ; 0x6ec9b4a7
	.long	2913642493                      ; 0xadaaa7fd
	;; [unrolled: 1-line block ×13, first 2 shown]
	.long	294584132                       ; 0x118eff44
	.long	3086749695                      ; 0xb7fc0fff
	.long	3324400975                      ; 0xc626554f
	;; [unrolled: 1-line block ×4, first 2 shown]
	.long	543687304                       ; 0x20680288
	.long	4008517630                      ; 0xeeed1ffe
	.long	836370334                       ; 0x31d9ff9e
	.long	1876426750                      ; 0x6fd7fffe
	.long	2362048414                      ; 0x8cc9ff9e
	;; [unrolled: 1-line block ×9, first 2 shown]
	.long	697661816                       ; 0x29957978
	.long	1336049656                      ; 0x4fa27ff8
	.long	3309365624                      ; 0xc540e978
	;; [unrolled: 1-line block ×7, first 2 shown]
	.long	41950336                        ; 0x2801c80
	.long	3423478496                      ; 0xcc0e22e0
	.long	2885608160                      ; 0xabfee2e0
	.long	3943744224                      ; 0xeb10c2e0
	.long	677380832                       ; 0x286002e0
	.long	4179285363                      ; 0xf91ad573
	.long	1939838472                      ; 0x739f9608
	;; [unrolled: 1-line block ×3, first 2 shown]
	.long	166205219                       ; 0x9e81723
	.long	1757484276                      ; 0x68c114f4
	.long	3838244595                      ; 0xe4c6f6f3
	;; [unrolled: 1-line block ×4, first 2 shown]
	.long	253454719                       ; 0xf1b697f
	.long	2661974169                      ; 0x9eaa8099
	.long	138737288                       ; 0x844f688
	.long	4075331504                      ; 0xf2e89fb0
	.long	31014156                        ; 0x1d93d0c
	.long	244538930                       ; 0xe935e32
	.long	3752264221                      ; 0xdfa7021d
	.long	1503392345                      ; 0x599bf259
	.long	219309525                       ; 0xd1265d5
	.long	246620060                       ; 0xeb31f9c
	;; [unrolled: 1-line block ×3, first 2 shown]
	.long	4125020723                      ; 0xf5ded233
	.long	1759481152                      ; 0x68df8d40
	;; [unrolled: 1-line block ×3, first 2 shown]
	.long	297169276                       ; 0x11b6717c
	.long	3293566751                      ; 0xc44fd71f
	.long	1867504216                      ; 0x6f4fda58
	;; [unrolled: 1-line block ×4, first 2 shown]
	.long	499723753                       ; 0x1dc92de9
	.long	1730625896                      ; 0x67274168
	.long	189236880                       ; 0xb478690
	.long	2610231010                      ; 0x9b94f6e2
	.long	2433358422                      ; 0x910a1a56
	.long	1368961148                      ; 0x5198b07c
	.long	3134096848                      ; 0xbace85d0
	.long	2827836415                      ; 0xa88d5bff
	.long	3903474593                      ; 0xe8aa4ba1
	.long	4172043647                      ; 0xf8ac557f
	.long	3379360748                      ; 0xc96cf3ec
	.long	2651760955                      ; 0x9e0ea93b
	.long	1345081091                      ; 0x502c4f03
	.long	1267864331                      ; 0x4b92130b
	.long	189423917                       ; 0xb4a612d
	.long	1927379456                      ; 0x72e17a00
	.long	4004336944                      ; 0xeead5530
	.long	2995932065                      ; 0xb2924ba1
	.long	3452816347                      ; 0xcdcdcbdb
	.long	2551113616                      ; 0x980ee790
	.long	1576396048                      ; 0x5df5e510
	.long	1299792730                      ; 0x4d79435a
	.long	2151240795                      ; 0x8039545b
	.long	1222520631                      ; 0x48de2f37
	.long	4292139924                      ; 0xffd4db94
	.long	3555849728                      ; 0xd3f1f600
	.long	943986992                       ; 0x38441930
	.long	3169912733                      ; 0xbcf1079d
	.long	3260130211                      ; 0xc251a3a3
	.long	3478094562                      ; 0xcf4f82e2
	.long	1285558544                      ; 0x4ca01110
	.long	3716074330                      ; 0xdd7ecb5a
	.long	2780749859                      ; 0xa5bee023
	.long	3039362306                      ; 0xb528fd02
	.long	4175656994                      ; 0xf8e37822
	.long	1731832828                      ; 0x6739abfc
	.long	1275401375                      ; 0x4c05149f
	.long	937322456                       ; 0x37de67d8
	.long	3236754932                      ; 0xc0ecf5f4
	.long	1145506936                      ; 0x44470c78
	;; [unrolled: 1-line block ×4, first 2 shown]
	.long	645739137                       ; 0x267d3281
	.long	1358079399                      ; 0x50f2a5a7
	.long	827886816                       ; 0x31588ce0
	.long	1722154800                      ; 0x66a5ff30
	.long	2242776733                      ; 0x85ae0e9d
	.long	754630810                       ; 0x2cfac09a
	.long	1748663943                      ; 0x683a7e87
	.long	249481170                       ; 0xedec7d2
	.long	2608123425                      ; 0x9b74ce21
	.long	2087201889                      ; 0x7c682c61
	;; [unrolled: 1-line block ×3, first 2 shown]
	.long	698076610                       ; 0x299bcdc2
	.long	841433255                       ; 0x322740a7
	;; [unrolled: 1-line block ×3, first 2 shown]
	.long	1878882709                      ; 0x6ffd7995
	.long	705347364                       ; 0x2a0abf24
	.long	3692794996                      ; 0xdc1b9474
	.long	3194913138                      ; 0xbe6e8172
	.long	2616490007                      ; 0x9bf47817
	.long	357561212                       ; 0x154ff37c
	.long	2446098297                      ; 0x91cc7f79
	.long	2771068186                      ; 0xa52b251a
	;; [unrolled: 4-line block ×3, first 2 shown]
	.long	27937268                        ; 0x1aa49f4
	.long	2455017713                      ; 0x925498f1
	.long	1749147666                      ; 0x6841e012
	;; [unrolled: 1-line block ×7, first 2 shown]
	.long	714577577                       ; 0x2a9796a9
	.long	165950208                       ; 0x9e43300
	.long	528340088                       ; 0x1f7dd478
	.long	489077752                       ; 0x1d26bbf8
	.long	216760440                       ; 0xceb8078
	.long	42151250                        ; 0x2832d52
	.long	426862080                       ; 0x19716600
	.long	1646215396                      ; 0x621f40e4
	.long	4112075489                      ; 0xf5194ae1
	;; [unrolled: 1-line block ×4, first 2 shown]
	.long	982512636                       ; 0x3a8ff3fc
	.long	2095821304                      ; 0x7cebb1f8
	.long	4286077681                      ; 0xff785af1
	.long	198050301                       ; 0xbce01fd
	.long	1858712743                      ; 0x6ec9b4a7
	.long	2913642493                      ; 0xadaaa7fd
	;; [unrolled: 3-line block ×3, first 2 shown]
	.long	2286578015                      ; 0x884a695f
	.long	3422343167                      ; 0xcbfccfff
	;; [unrolled: 1-line block ×8, first 2 shown]
	.long	294584132                       ; 0x118eff44
	.long	3086749695                      ; 0xb7fc0fff
	.long	3324400975                      ; 0xc626554f
	;; [unrolled: 1-line block ×3, first 2 shown]
	.long	136978944                       ; 0x82a2200
	.long	543687304                       ; 0x20680288
	.long	4008517630                      ; 0xeeed1ffe
	.long	836370334                       ; 0x31d9ff9e
	.long	1876426750                      ; 0x6fd7fffe
	.long	3275253760                      ; 0xc3386800
	;; [unrolled: 1-line block ×9, first 2 shown]
	.long	697661816                       ; 0x29957978
	.long	1336049656                      ; 0x4fa27ff8
	.long	3265045504                      ; 0xc29ca400
	;; [unrolled: 1-line block ×7, first 2 shown]
	.long	41950336                        ; 0x2801c80
	.long	3423478496                      ; 0xcc0e22e0
	.long	2885608160                      ; 0xabfee2e0
	;; [unrolled: 1-line block ×7, first 2 shown]
	.long	166205219                       ; 0x9e81723
	.long	715714152                       ; 0x2aa8ee68
	.long	3838244595                      ; 0xe4c6f6f3
	.long	2345662040                      ; 0x8bcff658
	;; [unrolled: 1-line block ×3, first 2 shown]
	.long	253454719                       ; 0xf1b697f
	.long	3758048260                      ; 0xdfff4404
	.long	138737288                       ; 0x844f688
	.long	4075331504                      ; 0xf2e89fb0
	.long	31014156                        ; 0x1d93d0c
	.long	244538930                       ; 0xe935e32
	.long	370671650                       ; 0x16180022
	.long	1503392345                      ; 0x599bf259
	.long	219309525                       ; 0xd1265d5
	.long	246620060                       ; 0xeb31f9c
	;; [unrolled: 1-line block ×3, first 2 shown]
	.long	2219162331                      ; 0x8445badb
	.long	1759481152                      ; 0x68df8d40
	;; [unrolled: 1-line block ×3, first 2 shown]
	.long	297169276                       ; 0x11b6717c
	.long	3293566751                      ; 0xc44fd71f
	.long	135243402                       ; 0x80fa68a
	.long	3898070400                      ; 0xe857d580
	.long	2531663658                      ; 0x96e61f2a
	.long	499723753                       ; 0x1dc92de9
	.long	1730625896                      ; 0x67274168
	.long	3142293713                      ; 0xbb4b98d1
	.long	2610231010                      ; 0x9b94f6e2
	.long	2433358422                      ; 0x910a1a56
	.long	1368961148                      ; 0x5198b07c
	.long	3134096848                      ; 0xbace85d0
	.long	486949791                       ; 0x1d06439f
	.long	3903474593                      ; 0xe8aa4ba1
	.long	4172043647                      ; 0xf8ac557f
	;; [unrolled: 1-line block ×6, first 2 shown]
	.long	189423917                       ; 0xb4a612d
	.long	1927379456                      ; 0x72e17a00
	.long	4004336944                      ; 0xeead5530
	.long	191463910                       ; 0xb6981e6
	.long	3452816347                      ; 0xcdcdcbdb
	.long	2551113616                      ; 0x980ee790
	.long	1576396048                      ; 0x5df5e510
	.long	1299792730                      ; 0x4d79435a
	.long	4411574                         ; 0x4350b6
	.long	1222520631                      ; 0x48de2f37
	.long	4292139924                      ; 0xffd4db94
	;; [unrolled: 1-line block ×3, first 2 shown]
	.long	943986992                       ; 0x38441930
	.long	3073348038                      ; 0xb72f91c6
	.long	3260130211                      ; 0xc251a3a3
	.long	3478094562                      ; 0xcf4f82e2
	.long	1285558544                      ; 0x4ca01110
	.long	3716074330                      ; 0xdd7ecb5a
	.long	3098363790                      ; 0xb8ad478e
	.long	3039362306                      ; 0xb528fd02
	.long	4175656994                      ; 0xf8e37822
	.long	1731832828                      ; 0x6739abfc
	.long	1275401375                      ; 0x4c05149f
	.long	468159532                       ; 0x1be78c2c
	.long	3236754932                      ; 0xc0ecf5f4
	.long	1145506936                      ; 0x44470c78
	;; [unrolled: 1-line block ×6, first 2 shown]
	.long	827886816                       ; 0x31588ce0
	.long	1722154800                      ; 0x66a5ff30
	.long	2242776733                      ; 0x85ae0e9d
	.long	53128947                        ; 0x32aaef3
	.long	1748663943                      ; 0x683a7e87
	.long	249481170                       ; 0xedec7d2
	.long	2608123425                      ; 0x9b74ce21
	.long	2087201889                      ; 0x7c682c61
	;; [unrolled: 1-line block ×3, first 2 shown]
	.long	698076610                       ; 0x299bcdc2
	.long	841433255                       ; 0x322740a7
	;; [unrolled: 1-line block ×3, first 2 shown]
	.long	1878882709                      ; 0x6ffd7995
	.long	1505419004                      ; 0x59badefc
	;; [unrolled: 1-line block ×5, first 2 shown]
	.long	357561212                       ; 0x154ff37c
	.long	2823143358                      ; 0xa845bfbe
	.long	2771068186                      ; 0xa52b251a
	.long	2512991743                      ; 0x95c935ff
	.long	637464579                       ; 0x25fef003
	.long	1209132455                      ; 0x4811e5a7
	.long	1991737212                      ; 0x76b77f7c
	.long	27937268                        ; 0x1aa49f4
	.long	2455017713                      ; 0x925498f1
	.long	1749147666                      ; 0x6841e012
	;; [unrolled: 1-line block ×7, first 2 shown]
	.long	714577577                       ; 0x2a9796a9
	.long	3633969112                      ; 0xd899f7d8
	.long	528340088                       ; 0x1f7dd478
	.long	489077752                       ; 0x1d26bbf8
	;; [unrolled: 1-line block ×3, first 2 shown]
	.long	42151250                        ; 0x2832d52
	.long	2886728356                      ; 0xac0ffaa4
	.long	1646215396                      ; 0x621f40e4
	;; [unrolled: 1-line block ×8, first 2 shown]
	.long	198050301                       ; 0xbce01fd
	.long	1858712743                      ; 0x6ec9b4a7
	.long	1463806912                      ; 0x573febc0
	.long	277300160                       ; 0x108743c0
	.long	3981929169                      ; 0xed576ad1
	.long	2944140287                      ; 0xaf7c03ff
	;; [unrolled: 1-line block ×10, first 2 shown]
	.long	294584132                       ; 0x118eff44
	.long	3086749695                      ; 0xb7fc0fff
	.long	3324400975                      ; 0xc626554f
	;; [unrolled: 1-line block ×3, first 2 shown]
	.long	136978944                       ; 0x82a2200
	.long	543687304                       ; 0x20680288
	.long	4008517630                      ; 0xeeed1ffe
	.long	836370334                       ; 0x31d9ff9e
	.long	2978609152                      ; 0xb189f800
	.long	3275253760                      ; 0xc3386800
	;; [unrolled: 1-line block ×9, first 2 shown]
	.long	697661816                       ; 0x29957978
	.long	1086645248                      ; 0x40c4e400
	.long	3265045504                      ; 0xc29ca400
	;; [unrolled: 1-line block ×7, first 2 shown]
	.long	41950336                        ; 0x2801c80
	.long	3423478496                      ; 0xcc0e22e0
	.long	2885608160                      ; 0xabfee2e0
	;; [unrolled: 1-line block ×8, first 2 shown]
	.long	715714152                       ; 0x2aa8ee68
	.long	3838244595                      ; 0xe4c6f6f3
	.long	2345662040                      ; 0x8bcff658
	;; [unrolled: 1-line block ×5, first 2 shown]
	.long	138737288                       ; 0x844f688
	.long	4075331504                      ; 0xf2e89fb0
	.long	31014156                        ; 0x1d93d0c
	.long	2257801369                      ; 0x86935099
	.long	370671650                       ; 0x16180022
	.long	1503392345                      ; 0x599bf259
	.long	219309525                       ; 0xd1265d5
	.long	246620060                       ; 0xeb31f9c
	.long	1375177854                      ; 0x51f78c7e
	.long	2219162331                      ; 0x8445badb
	.long	1759481152                      ; 0x68df8d40
	.long	3236558869                      ; 0xc0e9f815
	.long	297169276                       ; 0x11b6717c
	.long	2981812236                      ; 0xb1bad80c
	.long	135243402                       ; 0x80fa68a
	.long	3898070400                      ; 0xe857d580
	.long	2531663658                      ; 0x96e61f2a
	.long	499723753                       ; 0x1dc92de9
	.long	1103465850                      ; 0x41c58d7a
	.long	3142293713                      ; 0xbb4b98d1
	;; [unrolled: 1-line block ×6, first 2 shown]
	.long	486949791                       ; 0x1d06439f
	.long	3903474593                      ; 0xe8aa4ba1
	.long	4172043647                      ; 0xf8ac557f
	;; [unrolled: 1-line block ×6, first 2 shown]
	.long	189423917                       ; 0xb4a612d
	.long	1927379456                      ; 0x72e17a00
	.long	1359812359                      ; 0x510d1707
	.long	191463910                       ; 0xb6981e6
	.long	3452816347                      ; 0xcdcdcbdb
	.long	2551113616                      ; 0x980ee790
	;; [unrolled: 1-line block ×4, first 2 shown]
	.long	4411574                         ; 0x4350b6
	.long	1222520631                      ; 0x48de2f37
	.long	4292139924                      ; 0xffd4db94
	;; [unrolled: 1-line block ×3, first 2 shown]
	.long	949028615                       ; 0x38910707
	.long	3073348038                      ; 0xb72f91c6
	.long	3260130211                      ; 0xc251a3a3
	;; [unrolled: 1-line block ×10, first 2 shown]
	.long	468159532                       ; 0x1be78c2c
	.long	3236754932                      ; 0xc0ecf5f4
	.long	1145506936                      ; 0x44470c78
	;; [unrolled: 1-line block ×6, first 2 shown]
	.long	827886816                       ; 0x31588ce0
	.long	1722154800                      ; 0x66a5ff30
	.long	1069547583                      ; 0x3fc0003f
	.long	53128947                        ; 0x32aaef3
	.long	1748663943                      ; 0x683a7e87
	.long	249481170                       ; 0xedec7d2
	.long	2608123425                      ; 0x9b74ce21
	.long	3162506114                      ; 0xbc800382
	.long	1960144614                      ; 0x74d56ee6
	.long	698076610                       ; 0x299bcdc2
	.long	841433255                       ; 0x322740a7
	.long	477543427                       ; 0x1c76bc03
	.long	3641706484                      ; 0xd91007f4
	.long	1505419004                      ; 0x59badefc
	.long	3692794996                      ; 0xdc1b9474
	.long	3194913138                      ; 0xbe6e8172
	.long	2616490007                      ; 0x9bf47817
	.long	3623882586                      ; 0xd8000f5a
	.long	2823143358                      ; 0xa845bfbe
	.long	2771068186                      ; 0xa52b251a
	.long	2512991743                      ; 0x95c935ff
	.long	637464579                       ; 0x25fef003
	.long	16785012                        ; 0x1001e74
	.long	1991737212                      ; 0x76b77f7c
	.long	27937268                        ; 0x1aa49f4
	.long	2455017713                      ; 0x925498f1
	.long	1749147666                      ; 0x6841e012
	;; [unrolled: 1-line block ×9, first 2 shown]
	.long	528340088                       ; 0x1f7dd478
	.long	489077752                       ; 0x1d26bbf8
	;; [unrolled: 1-line block ×3, first 2 shown]
	.long	3628134628                      ; 0xd840f0e4
	.long	2886728356                      ; 0xac0ffaa4
	;; [unrolled: 1-line block ×9, first 2 shown]
	.long	198050301                       ; 0xbce01fd
	.long	2501362624                      ; 0x9517c3c0
	.long	1463806912                      ; 0x573febc0
	.long	277300160                       ; 0x108743c0
	.long	3981929169                      ; 0xed576ad1
	.long	2944140287                      ; 0xaf7c03ff
	;; [unrolled: 1-line block ×10, first 2 shown]
	.long	294584132                       ; 0x118eff44
	.long	3086749695                      ; 0xb7fc0fff
	.long	366387712                       ; 0x15d6a200
	.long	4274031104                      ; 0xfec08a00
	.long	136978944                       ; 0x82a2200
	.long	543687304                       ; 0x20680288
	.long	4008517630                      ; 0xeeed1ffe
	.long	1006135296                      ; 0x3bf86800
	;; [unrolled: 1-line block ×19, first 2 shown]
	.long	41950336                        ; 0x2801c80
	.long	3423478496                      ; 0xcc0e22e0
	.long	989898496                       ; 0x3b00a700
	.long	3410688577                      ; 0xcb4afa41
	.long	2331788830                      ; 0x8afc461e
	;; [unrolled: 1-line block ×3, first 2 shown]
	.long	813828841                       ; 0x30820ae9
	.long	1865093068                      ; 0x6f2b0fcc
	.long	3265457506                      ; 0xc2a2ed62
	;; [unrolled: 1-line block ×9, first 2 shown]
	.long	932961512                       ; 0x379bdce8
	.long	2470761029                      ; 0x9344d245
	.long	3401764108                      ; 0xcac2cd0c
	;; [unrolled: 1-line block ×4, first 2 shown]
	.long	589386372                       ; 0x23215284
	.long	879396240                       ; 0x346a8590
	.long	3372470254                      ; 0xc903cfee
	.long	2693109296                      ; 0xa0859630
	;; [unrolled: 1-line block ×3, first 2 shown]
	.long	38442268                        ; 0x24a951c
	.long	1882087724                      ; 0x702e612c
	.long	171397600                       ; 0xa3751e0
	.long	2024561281                      ; 0x78ac5a81
	.long	183095586                       ; 0xae9d122
	.long	3282207272                      ; 0xc3a28228
	.long	3402177296                      ; 0xcac91b10
	.long	1859195498                      ; 0x6ed1126a
	.long	413109947                       ; 0x189f8ebb
	.long	2839537944                      ; 0xa93fe918
	.long	1632143648                      ; 0x61488920
	;; [unrolled: 4-line block ×3, first 2 shown]
	.long	3826785440                      ; 0xe4181ca0
	.long	2896086528                      ; 0xac9ec600
	;; [unrolled: 1-line block ×13, first 2 shown]
	.long	708088129                       ; 0x2a349141
	.long	1501395566                      ; 0x597d7a6e
	.long	1302184960                      ; 0x4d9dc400
	.long	1360092352                      ; 0x51115cc0
	.long	1645630430                      ; 0x621653de
	.long	1425230387                      ; 0x54f34a33
	.long	3369488824                      ; 0xc8d651b8
	.long	2979863936                      ; 0xb19d1d80
	.long	869212432                       ; 0x33cf2110
	.long	150548847                       ; 0x8f9316f
	.long	1097557362                      ; 0x416b6572
	.long	655939640                       ; 0x2718d838
	.long	316553344                       ; 0x12de3880
	.long	3761918508                      ; 0xe03a522c
	.long	3958338094                      ; 0xebef722e
	.long	141744600                       ; 0x872d9d8
	.long	1412214640                      ; 0x542caf70
	.long	1859689984                      ; 0x6ed89e00
	;; [unrolled: 1-line block ×4, first 2 shown]
	.long	999801880                       ; 0x3b97c418
	.long	3946079738                      ; 0xeb3465fa
	.long	1876072704                      ; 0x6fd29900
	.long	194381849                       ; 0xb960819
	.long	2177533995                      ; 0x81ca882b
	.long	1584707624                      ; 0x5e74b828
	;; [unrolled: 1-line block ×8, first 2 shown]
	.long	194975744                       ; 0xb9f1800
	.long	1731731470                      ; 0x6738200e
	.long	4168755162                      ; 0xf87a27da
	;; [unrolled: 1-line block ×5, first 2 shown]
	.long	960774145                       ; 0x39444001
	.long	2646626078                      ; 0x9dc04f1e
	.long	2152793157                      ; 0x80510445
	;; [unrolled: 1-line block ×3, first 2 shown]
	.long	672464896                       ; 0x28150000
	.long	3046932493                      ; 0xb59c800d
	.long	3700727536                      ; 0xdc949ef0
	;; [unrolled: 1-line block ×3, first 2 shown]
	.long	575986696                       ; 0x2254dc08
	.long	671940608                       ; 0x280d0000
	.long	2208366608                      ; 0x83a10010
	.long	1454456125                      ; 0x56b13d3d
	.long	937760016                       ; 0x37e51510
	.long	4103979069                      ; 0xf49dc03d
	.long	2737668096                      ; 0xa32d8000
	;; [unrolled: 1-line block ×10, first 2 shown]
	.long	140658149                       ; 0x86245e5
	.long	4254138368                      ; 0xfd910000
	.long	1745354889                      ; 0x68080089
	.long	711584249                       ; 0x2a69e9f9
	.long	2746523017                      ; 0xa3b49d89
	.long	2551006457                      ; 0x980d44f9
	;; [unrolled: 1-line block ×6, first 2 shown]
	.long	976716737                       ; 0x3a3783c1
	.long	2653421568                      ; 0x9e280000
	.long	3806331426                      ; 0xe2e00222
	;; [unrolled: 1-line block ×6, first 2 shown]
	.long	286262340                       ; 0x11100444
	.long	2300534532                      ; 0x891f5f04
	.long	4206449732                      ; 0xfab95444
	.long	15339268                        ; 0xea0f04
	.long	2894069760                      ; 0xac800000
	.long	488376456                       ; 0x1d1c0888
	.long	1489927688                      ; 0x58ce7e08
	.long	1196583048                      ; 0x47526888
	.long	652746248                       ; 0x26e81e08
	.long	2214592512                      ; 0x84000000
	.long	69904                           ; 0x11110
	.long	1006205200                      ; 0x3bf97910
	.long	2322628880                      ; 0x8a708110
	;; [unrolled: 1-line block ×7, first 2 shown]
	.long	386199072                       ; 0x1704ee20
	.long	1744830464                      ; 0x68000000
	.long	1342444608                      ; 0x50041440
	;; [unrolled: 1-line block ×24, first 2 shown]
	.long	717518631                       ; 0x2ac47727
	.long	2401090860                      ; 0x8f1dbd2c
	.long	3606967204                      ; 0xd6fdf3a4
	.long	952637656                       ; 0x38c818d8
	.long	59827581                        ; 0x390e57d
	.long	1291486682                      ; 0x4cfa85da
	.long	1499453515                      ; 0x595fd84b
	;; [unrolled: 1-line block ×3, first 2 shown]
	.long	563998083                       ; 0x219ded83
	.long	4094000396                      ; 0xf4057d0c
	.long	1163546899                      ; 0x455a5113
	;; [unrolled: 1-line block ×3, first 2 shown]
	.long	654565639                       ; 0x2703e107
	.long	1070907026                      ; 0x3fd4be92
	.long	4217851863                      ; 0xfb674fd7
	.long	426034251                       ; 0x1964c44b
	.long	1721352737                      ; 0x6699c221
	.long	278404469                       ; 0x10981d75
	.long	3899800390                      ; 0xe8723b46
	.long	1063362170                      ; 0x3f619e7a
	;; [unrolled: 1-line block ×5, first 2 shown]
	.long	186674553                       ; 0xb206d79
	.long	2616406148                      ; 0x9bf33084
	.long	3137968354                      ; 0xbb0998e2
	;; [unrolled: 1-line block ×7, first 2 shown]
	.long	719586342                       ; 0x2ae40426
	.long	2602548287                      ; 0x9b1fbc3f
	.long	3386583150                      ; 0xc9db286e
	.long	355354345                       ; 0x152e46e9
	.long	3252815848                      ; 0xc1e207e8
	.long	2178056037                      ; 0x81d27f65
	;; [unrolled: 1-line block ×5, first 2 shown]
	.long	802791670                       ; 0x2fd9a0f6
	.long	251122316                       ; 0xef7d28c
	.long	3705188626                      ; 0xdcd8b112
	.long	1252262272                      ; 0x4aa40180
	;; [unrolled: 1-line block ×8, first 2 shown]
	.long	209341805                       ; 0xc7a4d6d
	.long	1820357643                      ; 0x6c80740b
	.long	3712392731                      ; 0xdd469e1b
	.long	685796521                       ; 0x28e06ca9
	.long	1322920440                      ; 0x4eda29f8
	.long	814388470                       ; 0x308a94f6
	;; [unrolled: 2-line block ×3, first 2 shown]
	.long	2650681935                      ; 0x9dfe324f
	.long	1371566728                      ; 0x51c07288
	.long	58783716                        ; 0x380f7e4
	.long	2273435933                      ; 0x8781e11d
	.long	3498513198                      ; 0xd087132e
	.long	792571900                       ; 0x2f3daffc
	.long	1447808772                      ; 0x564bcf04
	.long	3513385860                      ; 0xd16a0384
	.long	99175889                        ; 0x5e94dd1
	.long	1105434360                      ; 0x41e396f8
	.long	1484146625                      ; 0x587647c1
	;; [unrolled: 1-line block ×3, first 2 shown]
	.long	242672513                       ; 0xe76e381
	.long	3552105593                      ; 0xd3b8d479
	.long	1425844616                      ; 0x54fca988
	;; [unrolled: 1-line block ×4, first 2 shown]
	.long	607610433                       ; 0x24376641
	.long	2130018608                      ; 0x7ef58130
	.long	1610235673                      ; 0x5ffa3f19
	;; [unrolled: 1-line block ×4, first 2 shown]
	.long	994392866                       ; 0x3b453b22
	.long	450823250                       ; 0x1adf0452
	.long	2912535126                      ; 0xad99c256
	.long	2574390988                      ; 0x997216cc
	;; [unrolled: 1-line block ×3, first 2 shown]
	.long	78696582                        ; 0x4b0d086
	.long	649682891                       ; 0x26b95fcb
	.long	3980917176                      ; 0xed47f9b8
	.long	3221419689                      ; 0xc002f6a9
	.long	960695436                       ; 0x39430c8c
	.long	729221508                       ; 0x2b770984
	;; [unrolled: 1-line block ×3, first 2 shown]
	.long	3392407691                      ; 0xca34088b
	.long	472711005                       ; 0x1c2cff5d
	.long	295914899                       ; 0x11a34d93
	.long	3005191796                      ; 0xb31f9674
	.long	3078521977                      ; 0xb77e8479
	.long	3370011868                      ; 0xc8de4cdc
	.long	509135340                       ; 0x1e58c9ec
	.long	1965939519                      ; 0x752ddb3f
	.long	2086465877                      ; 0x7c5cf155
	;; [unrolled: 1-line block ×4, first 2 shown]
	.long	762289386                       ; 0x2d6f9cea
	.long	3618693997                      ; 0xd7b0e36d
	.long	233730715                       ; 0xdee729b
	.long	2873984650                      ; 0xab4d868a
	.long	31168606                        ; 0x1db985e
	.long	3367142977                      ; 0xc8b28641
	.long	2851851305                      ; 0xa9fbcc29
	;; [unrolled: 1-line block ×5, first 2 shown]
	.long	901235185                       ; 0x35b7c1f1
	.long	1564391510                      ; 0x5d3eb856
	.long	2352686527                      ; 0x8c3b25bf
	;; [unrolled: 1-line block ×3, first 2 shown]
	.long	578573310                       ; 0x227c53fe
	.long	3462447127                      ; 0xce60c017
	.long	2482873876                      ; 0x93fda614
	;; [unrolled: 1-line block ×8, first 2 shown]
	.long	519905259                       ; 0x1efd1feb
	.long	3184556473                      ; 0xbdd079b9
	.long	1076378339                      ; 0x40283ae3
	;; [unrolled: 1-line block ×3, first 2 shown]
	.long	970097715                       ; 0x39d28433
	.long	4013407916                      ; 0xef37beac
	.long	4014350363                      ; 0xef46201b
	;; [unrolled: 1-line block ×8, first 2 shown]
	.long	451743296                       ; 0x1aed0e40
	.long	1987067871                      ; 0x76703fdf
	.long	1975657871                      ; 0x75c2258f
	;; [unrolled: 1-line block ×12, first 2 shown]
	.long	611557097                       ; 0x24739ee9
	.long	3789871366                      ; 0xe1e4d906
	.long	4246691682                      ; 0xfd1f5f62
	;; [unrolled: 1-line block ×8, first 2 shown]
	.long	717518631                       ; 0x2ac47727
	.long	2460955430                      ; 0x92af3326
	.long	3606967204                      ; 0xd6fdf3a4
	.long	952637656                       ; 0x38c818d8
	.long	59827581                        ; 0x390e57d
	.long	1291486682                      ; 0x4cfa85da
	.long	3531087304                      ; 0xd2781dc8
	;; [unrolled: 1-line block ×3, first 2 shown]
	.long	563998083                       ; 0x219ded83
	.long	4094000396                      ; 0xf4057d0c
	.long	1163546899                      ; 0x455a5113
	;; [unrolled: 1-line block ×3, first 2 shown]
	.long	654565639                       ; 0x2703e107
	.long	1070907026                      ; 0x3fd4be92
	.long	4217851863                      ; 0xfb674fd7
	.long	426034251                       ; 0x1964c44b
	.long	3034416129                      ; 0xb4dd8401
	.long	278404469                       ; 0x10981d75
	.long	3899800390                      ; 0xe8723b46
	.long	1063362170                      ; 0x3f619e7a
	;; [unrolled: 1-line block ×5, first 2 shown]
	.long	186674553                       ; 0xb206d79
	.long	2616406148                      ; 0x9bf33084
	.long	3137968354                      ; 0xbb0998e2
	.long	639885806                       ; 0x2623e1ee
	.long	1495068058                      ; 0x591ced9a
	.long	3033760361                      ; 0xb4d38269
	;; [unrolled: 1-line block ×7, first 2 shown]
	.long	355354345                       ; 0x152e46e9
	.long	3252815848                      ; 0xc1e207e8
	.long	1555885880                      ; 0x5cbcef38
	;; [unrolled: 1-line block ×5, first 2 shown]
	.long	802791670                       ; 0x2fd9a0f6
	.long	2948774612                      ; 0xafc2bad4
	.long	3705188626                      ; 0xdcd8b112
	;; [unrolled: 1-line block ×9, first 2 shown]
	.long	209341805                       ; 0xc7a4d6d
	.long	3763367196                      ; 0xe0506d1c
	.long	3712392731                      ; 0xdd469e1b
	.long	685796521                       ; 0x28e06ca9
	.long	1322920440                      ; 0x4eda29f8
	.long	814388470                       ; 0x308a94f6
	;; [unrolled: 2-line block ×3, first 2 shown]
	.long	2650681935                      ; 0x9dfe324f
	.long	1371566728                      ; 0x51c07288
	.long	58783716                        ; 0x380f7e4
	.long	1423189187                      ; 0x54d424c3
	.long	3498513198                      ; 0xd087132e
	.long	792571900                       ; 0x2f3daffc
	.long	1447808772                      ; 0x564bcf04
	.long	3513385860                      ; 0xd16a0384
	.long	315969823                       ; 0x12d5511f
	.long	1105434360                      ; 0x41e396f8
	.long	1484146625                      ; 0x587647c1
	.long	3327194068                      ; 0xc650f3d4
	.long	242672513                       ; 0xe76e381
	.long	3336228275                      ; 0xc6dacdb3
	.long	1425844616                      ; 0x54fca988
	.long	2871928454                      ; 0xab2e2686
	.long	1124633561                      ; 0x43088bd9
	.long	607610433                       ; 0x24376641
	.long	1762052458                      ; 0x6906c96a
	;; [unrolled: 5-line block ×3, first 2 shown]
	.long	2912535126                      ; 0xad99c256
	.long	2574390988                      ; 0x997216cc
	;; [unrolled: 1-line block ×3, first 2 shown]
	.long	78696582                        ; 0x4b0d086
	.long	1626628844                      ; 0x60f462ec
	.long	3980917176                      ; 0xed47f9b8
	;; [unrolled: 1-line block ×3, first 2 shown]
	.long	960695436                       ; 0x39430c8c
	.long	729221508                       ; 0x2b770984
	;; [unrolled: 1-line block ×3, first 2 shown]
	.long	3392407691                      ; 0xca34088b
	.long	472711005                       ; 0x1c2cff5d
	.long	295914899                       ; 0x11a34d93
	.long	3005191796                      ; 0xb31f9674
	.long	514297204                       ; 0x1ea78d74
	.long	3370011868                      ; 0xc8de4cdc
	;; [unrolled: 2-line block ×3, first 2 shown]
	.long	2086465877                      ; 0x7c5cf155
	.long	3975975091                      ; 0xecfc90b3
	;; [unrolled: 1-line block ×3, first 2 shown]
	.long	762289386                       ; 0x2d6f9cea
	.long	3618693997                      ; 0xd7b0e36d
	.long	233730715                       ; 0xdee729b
	.long	455322516                       ; 0x1b23ab94
	.long	31168606                        ; 0x1db985e
	.long	3367142977                      ; 0xc8b28641
	.long	2851851305                      ; 0xa9fbcc29
	;; [unrolled: 1-line block ×5, first 2 shown]
	.long	901235185                       ; 0x35b7c1f1
	.long	1564391510                      ; 0x5d3eb856
	.long	2352686527                      ; 0x8c3b25bf
	.long	826181452                       ; 0x313e874c
	.long	578573310                       ; 0x227c53fe
	.long	3462447127                      ; 0xce60c017
	.long	2482873876                      ; 0x93fda614
	;; [unrolled: 1-line block ×8, first 2 shown]
	.long	877718651                       ; 0x3450ec7b
	.long	3184556473                      ; 0xbdd079b9
	.long	1076378339                      ; 0x40283ae3
	;; [unrolled: 1-line block ×3, first 2 shown]
	.long	970097715                       ; 0x39d28433
	.long	299344245                       ; 0x11d7a175
	.long	4014350363                      ; 0xef46201b
	.long	2476927059                      ; 0x93a2e853
	;; [unrolled: 1-line block ×7, first 2 shown]
	.long	451743296                       ; 0x1aed0e40
	.long	1987067871                      ; 0x76703fdf
	.long	3272848161                      ; 0xc313b321
	;; [unrolled: 1-line block ×6, first 2 shown]
	.long	834288064                       ; 0x31ba39c0
	.long	2621772886                      ; 0x9c451456
	.long	1804684571                      ; 0x6b914d1b
	.long	2106089606                      ; 0x7d886086
	.long	1533056158                      ; 0x5b60949e
	.long	304865970                       ; 0x122be2b2
	.long	611557097                       ; 0x24739ee9
	.long	3789871366                      ; 0xe1e4d906
	.long	4246691682                      ; 0xfd1f5f62
	;; [unrolled: 1-line block ×11, first 2 shown]
	.long	952637656                       ; 0x38c818d8
	.long	59827581                        ; 0x390e57d
	.long	2349212526                      ; 0x8c06236e
	.long	3531087304                      ; 0xd2781dc8
	;; [unrolled: 1-line block ×3, first 2 shown]
	.long	563998083                       ; 0x219ded83
	.long	4094000396                      ; 0xf4057d0c
	.long	4028900485                      ; 0xf0242485
	.long	1242934125                      ; 0x4a15ab6d
	.long	654565639                       ; 0x2703e107
	.long	1070907026                      ; 0x3fd4be92
	.long	4217851863                      ; 0xfb674fd7
	;; [unrolled: 1-line block ×4, first 2 shown]
	.long	278404469                       ; 0x10981d75
	.long	3899800390                      ; 0xe8723b46
	.long	1063362170                      ; 0x3f619e7a
	;; [unrolled: 1-line block ×5, first 2 shown]
	.long	186674553                       ; 0xb206d79
	.long	2616406148                      ; 0x9bf33084
	.long	4228837490                      ; 0xfc0ef072
	.long	639885806                       ; 0x2623e1ee
	.long	1495068058                      ; 0x591ced9a
	.long	3033760361                      ; 0xb4d38269
	;; [unrolled: 1-line block ×7, first 2 shown]
	.long	355354345                       ; 0x152e46e9
	.long	1815256314                      ; 0x6c329cfa
	.long	1555885880                      ; 0x5cbcef38
	;; [unrolled: 1-line block ×10, first 2 shown]
	.long	751187322                       ; 0x2cc6357a
	.long	2107826711                      ; 0x7da2e217
	.long	1447170583                      ; 0x56421217
	;; [unrolled: 1-line block ×7, first 2 shown]
	.long	685796521                       ; 0x28e06ca9
	.long	1322920440                      ; 0x4eda29f8
	.long	936300677                       ; 0x37ced085
	.long	1986168339                      ; 0x76628613
	;; [unrolled: 2-line block ×3, first 2 shown]
	.long	1371566728                      ; 0x51c07288
	.long	1308015359                      ; 0x4df6baff
	;; [unrolled: 1-line block ×4, first 2 shown]
	.long	792571900                       ; 0x2f3daffc
	.long	1447808772                      ; 0x564bcf04
	.long	3065349526                      ; 0xb6b58596
	.long	315969823                       ; 0x12d5511f
	.long	1105434360                      ; 0x41e396f8
	.long	1484146625                      ; 0x587647c1
	;; [unrolled: 1-line block ×22, first 2 shown]
	.long	960695436                       ; 0x39430c8c
	.long	3120142427                      ; 0xb9f9985b
	.long	382092233                       ; 0x16c643c9
	.long	3392407691                      ; 0xca34088b
	.long	472711005                       ; 0x1c2cff5d
	.long	295914899                       ; 0x11a34d93
	.long	4101686983                      ; 0xf47ac6c7
	.long	514297204                       ; 0x1ea78d74
	.long	3370011868                      ; 0xc8de4cdc
	;; [unrolled: 2-line block ×3, first 2 shown]
	.long	3015736706                      ; 0xb3c07d82
	.long	3975975091                      ; 0xecfc90b3
	;; [unrolled: 1-line block ×3, first 2 shown]
	.long	762289386                       ; 0x2d6f9cea
	.long	3618693997                      ; 0xd7b0e36d
	.long	2395097989                      ; 0x8ec24b85
	.long	455322516                       ; 0x1b23ab94
	.long	31168606                        ; 0x1db985e
	.long	3367142977                      ; 0xc8b28641
	.long	2851851305                      ; 0xa9fbcc29
	.long	30511955                        ; 0x1d19353
	.long	3952189603                      ; 0xeb91a0a3
	.long	3298190175                      ; 0xc496635f
	.long	901235185                       ; 0x35b7c1f1
	.long	1564391510                      ; 0x5d3eb856
	.long	2606298633                      ; 0x9b58f609
	.long	826181452                       ; 0x313e874c
	.long	578573310                       ; 0x227c53fe
	.long	3462447127                      ; 0xce60c017
	.long	2482873876                      ; 0x93fda614
	;; [unrolled: 1-line block ×8, first 2 shown]
	.long	877718651                       ; 0x3450ec7b
	.long	3184556473                      ; 0xbdd079b9
	.long	1076378339                      ; 0x40283ae3
	;; [unrolled: 1-line block ×4, first 2 shown]
	.long	299344245                       ; 0x11d7a175
	.long	4014350363                      ; 0xef46201b
	.long	2476927059                      ; 0x93a2e853
	;; [unrolled: 1-line block ×7, first 2 shown]
	.long	451743296                       ; 0x1aed0e40
	.long	889237383                       ; 0x3500af87
	.long	3272848161                      ; 0xc313b321
	.long	3397816882                      ; 0xca869232
	;; [unrolled: 1-line block ×5, first 2 shown]
	.long	834288064                       ; 0x31ba39c0
	.long	2621772886                      ; 0x9c451456
	.long	1804684571                      ; 0x6b914d1b
	;; [unrolled: 1-line block ×4, first 2 shown]
	.long	304865970                       ; 0x122be2b2
	.long	611557097                       ; 0x24739ee9
	.long	3789871366                      ; 0xe1e4d906
	.long	4246691682                      ; 0xfd1f5f62
	;; [unrolled: 1-line block ×11, first 2 shown]
	.long	952637656                       ; 0x38c818d8
	.long	1345432763                      ; 0x5031acbb
	.long	2349212526                      ; 0x8c06236e
	;; [unrolled: 1-line block ×4, first 2 shown]
	.long	563998083                       ; 0x219ded83
	.long	3749011414                      ; 0xdf755fd6
	.long	4028900485                      ; 0xf0242485
	;; [unrolled: 1-line block ×3, first 2 shown]
	.long	654565639                       ; 0x2703e107
	.long	1070907026                      ; 0x3fd4be92
	.long	1072342672                      ; 0x3feaa690
	;; [unrolled: 1-line block ×4, first 2 shown]
	.long	278404469                       ; 0x10981d75
	.long	3899800390                      ; 0xe8723b46
	.long	3566652188                      ; 0xd496cb1c
	;; [unrolled: 1-line block ×5, first 2 shown]
	.long	186674553                       ; 0xb206d79
	.long	4001263143                      ; 0xee7e6e27
	.long	4228837490                      ; 0xfc0ef072
	.long	639885806                       ; 0x2623e1ee
	.long	1495068058                      ; 0x591ced9a
	.long	3033760361                      ; 0xb4d38269
	;; [unrolled: 1-line block ×7, first 2 shown]
	.long	838831089                       ; 0x31ff8bf1
	.long	1815256314                      ; 0x6c329cfa
	.long	1555885880                      ; 0x5cbcef38
	;; [unrolled: 1-line block ×10, first 2 shown]
	.long	751187322                       ; 0x2cc6357a
	.long	2107826711                      ; 0x7da2e217
	.long	1447170583                      ; 0x56421217
	;; [unrolled: 1-line block ×7, first 2 shown]
	.long	685796521                       ; 0x28e06ca9
	.long	3238624475                      ; 0xc1097cdb
	.long	936300677                       ; 0x37ced085
	.long	1986168339                      ; 0x76628613
	;; [unrolled: 2-line block ×3, first 2 shown]
	.long	1642290570                      ; 0x61e35d8a
	.long	1308015359                      ; 0x4df6baff
	;; [unrolled: 1-line block ×4, first 2 shown]
	.long	792571900                       ; 0x2f3daffc
	.long	173318140                       ; 0xa549ffc
	.long	3065349526                      ; 0xb6b58596
	.long	315969823                       ; 0x12d5511f
	.long	1105434360                      ; 0x41e396f8
	.long	1484146625                      ; 0x587647c1
	;; [unrolled: 1-line block ×24, first 2 shown]
	.long	382092233                       ; 0x16c643c9
	.long	3392407691                      ; 0xca34088b
	.long	472711005                       ; 0x1c2cff5d
	.long	1659659070                      ; 0x62ec633e
	.long	4101686983                      ; 0xf47ac6c7
	.long	514297204                       ; 0x1ea78d74
	.long	3370011868                      ; 0xc8de4cdc
	.long	509135340                       ; 0x1e58c9ec
	.long	483888155                       ; 0x1cd78c1b
	.long	3015736706                      ; 0xb3c07d82
	.long	3975975091                      ; 0xecfc90b3
	.long	1324152522                      ; 0x4eecf6ca
	.long	762289386                       ; 0x2d6f9cea
	.long	1259948064                      ; 0x4b194820
	.long	2395097989                      ; 0x8ec24b85
	.long	455322516                       ; 0x1b23ab94
	.long	31168606                        ; 0x1db985e
	.long	3367142977                      ; 0xc8b28641
	.long	339990414                       ; 0x1443d78e
	.long	30511955                        ; 0x1d19353
	.long	3952189603                      ; 0xeb91a0a3
	.long	3298190175                      ; 0xc496635f
	.long	901235185                       ; 0x35b7c1f1
	.long	3097920065                      ; 0xb8a68241
	.long	2606298633                      ; 0x9b58f609
	.long	826181452                       ; 0x313e874c
	.long	578573310                       ; 0x227c53fe
	.long	3462447127                      ; 0xce60c017
	.long	1548039839                      ; 0x5c45369f
	;; [unrolled: 1-line block ×8, first 2 shown]
	.long	877718651                       ; 0x3450ec7b
	.long	3184556473                      ; 0xbdd079b9
	.long	1076378339                      ; 0x40283ae3
	.long	1570275057                      ; 0x5d987ef1
	.long	1730328819                      ; 0x6722b8f3
	.long	299344245                       ; 0x11d7a175
	.long	4014350363                      ; 0xef46201b
	.long	2476927059                      ; 0x93a2e853
	;; [unrolled: 1-line block ×8, first 2 shown]
	.long	889237383                       ; 0x3500af87
	.long	3272848161                      ; 0xc313b321
	.long	3397816882                      ; 0xca869232
	;; [unrolled: 1-line block ×11, first 2 shown]
	.long	768821792                       ; 0x2dd34a20
	.long	2205052576                      ; 0x836e6ea0
	.long	1348983754                      ; 0x5067dbca
	;; [unrolled: 1-line block ×8, first 2 shown]
	.long	741302051                       ; 0x2c2f5f23
	.long	3464753547                      ; 0xce83f18b
	.long	194213376                       ; 0xb937600
	.long	1482799064                      ; 0x5861b7d8
	.long	3009673860                      ; 0xb363fa84
	.long	680824208                       ; 0x28948d90
	.long	741966796                       ; 0x2c3983cc
	.long	2381283369                      ; 0x8def8029
	.long	3022877171                      ; 0xb42d71f3
	;; [unrolled: 1-line block ×14, first 2 shown]
	.long	334328879                       ; 0x13ed742f
	.long	1318235222                      ; 0x4e92ac56
	.long	3140739559                      ; 0xbb33e1e7
	.long	401691770                       ; 0x17f1547a
	.long	3604288404                      ; 0xd6d51394
	.long	3686496908                      ; 0xdbbb7a8c
	.long	770670945                       ; 0x2def8161
	.long	199139043                       ; 0xbde9ee3
	.long	2092710473                      ; 0x7cbc3a49
	.long	3914528993                      ; 0xe952f8e1
	.long	700991333                       ; 0x29c84765
	.long	2375775811                      ; 0x8d9b7643
	.long	858137308                       ; 0x332622dc
	.long	3490050165                      ; 0xd005f075
	.long	2389078291                      ; 0x8e667113
	;; [unrolled: 1-line block ×4, first 2 shown]
	.long	820012549                       ; 0x30e06605
	.long	2085659484                      ; 0x7c50a35c
	.long	2654485136                      ; 0x9e383a90
	;; [unrolled: 1-line block ×3, first 2 shown]
	.long	196481396                       ; 0xbb61174
	.long	1119673274                      ; 0x42bcdbba
	.long	1026209692                      ; 0x3d2ab79c
	.long	726501622                       ; 0x2b4d88f6
	.long	2940737143                      ; 0xaf481677
	.long	3559571163                      ; 0xd42abedb
	.long	2288027726                      ; 0x8860884e
	.long	1039212708                      ; 0x3df120a4
	.long	929664536                       ; 0x37698e18
	.long	1061981465                      ; 0x3f4c8d19
	.long	186058675                       ; 0xb1707b3
	.long	3537656152                      ; 0xd2dc5958
	;; [unrolled: 2-line block ×3, first 2 shown]
	.long	1545798611                      ; 0x5c2303d3
	.long	3031020656                      ; 0xb4a9b470
	;; [unrolled: 1-line block ×8, first 2 shown]
	.long	983632400                       ; 0x3aa10a10
	.long	4188503190                      ; 0xf9a77c96
	.long	757119675                       ; 0x2d20babb
	.long	2105920865                      ; 0x7d85cd61
	.long	4281032819                      ; 0xff2b6073
	;; [unrolled: 1-line block ×6, first 2 shown]
	.long	562313247                       ; 0x2184381f
	.long	3070846353                      ; 0xb7096591
	.long	2564238664                      ; 0x98d72d48
	;; [unrolled: 1-line block ×7, first 2 shown]
	.long	797768898                       ; 0x2f8cfcc2
	.long	2288390225                      ; 0x88661051
	.long	3230323685                      ; 0xc08ad3e5
	;; [unrolled: 1-line block ×4, first 2 shown]
	.long	289857826                       ; 0x1146e122
	.long	3565889868                      ; 0xd48b294c
	.long	2791014422                      ; 0xa65b8016
	;; [unrolled: 1-line block ×8, first 2 shown]
	.long	12563128                        ; 0xbfb2b8
	.long	1397542366                      ; 0x534ccdde
	.long	237149400                       ; 0xe229cd8
	.long	2233707508                      ; 0x8523abf4
	.long	3875573245                      ; 0xe7008dfd
	;; [unrolled: 1-line block ×3, first 2 shown]
	.long	175320773                       ; 0xa732ec5
	.long	4103445984                      ; 0xf4959de0
	.long	4089284323                      ; 0xf3bd86e3
	;; [unrolled: 1-line block ×4, first 2 shown]
	.long	680145366                       ; 0x288a31d6
	.long	2571684685                      ; 0x9948cb4d
	.long	1132894909                      ; 0x43869abd
	.long	104640024                       ; 0x63cae18
	.long	193765521                       ; 0xb8ca091
	.long	2338202907                      ; 0x8b5e251b
	.long	895271448                       ; 0x355cc218
	.long	11499099                        ; 0xaf765b
	.long	1798066417                      ; 0x6b2c50f1
	.long	1297412626                      ; 0x4d54f212
	;; [unrolled: 1-line block ×5, first 2 shown]
	.long	700683199                       ; 0x29c393bf
	.long	2609700278                      ; 0x9b8cddb6
	.long	2953463279                      ; 0xb00a45ef
	;; [unrolled: 1-line block ×7, first 2 shown]
	.long	231283580                       ; 0xdc91b7c
	.long	1375331115                      ; 0x51f9e32b
	.long	207723994                       ; 0xc619dda
	.long	1799562537                      ; 0x6b432529
	.long	2056553564                      ; 0x7a94845c
	;; [unrolled: 1-line block ×6, first 2 shown]
	.long	217877755                       ; 0xcfc8cfb
	.long	2095124912                      ; 0x7ce111b0
	.long	192024370                       ; 0xb720f32
	.long	1168134987                      ; 0x45a0534b
	.long	1889598668                      ; 0x70a0fccc
	;; [unrolled: 1-line block ×7, first 2 shown]
	.long	838034830                       ; 0x31f3658e
	.long	1338018789                      ; 0x4fc08be5
	.long	2595329276                      ; 0x9ab194fc
	;; [unrolled: 1-line block ×18, first 2 shown]
	.long	944408104                       ; 0x384a8628
	.long	2624631280                      ; 0x9c70b1f0
	.long	2729080685                      ; 0xa2aa776d
	;; [unrolled: 1-line block ×3, first 2 shown]
	.long	858809173                       ; 0x33306355
	.long	2289802345                      ; 0x887b9c69
	.long	2428186575                      ; 0x90bb2fcf
	;; [unrolled: 1-line block ×3, first 2 shown]
	.long	716011303                       ; 0x2aad7727
	.long	3443810690                      ; 0xcd446182
	.long	814132610                       ; 0x3086ad82
	.long	517432787                       ; 0x1ed765d3
	;; [unrolled: 1-line block ×3, first 2 shown]
	.long	2930433345                      ; 0xaeaadd41
	.long	291178098                       ; 0x115b0672
	.long	2117644502                      ; 0x7e38b0d6
	.long	2749446703                      ; 0xa3e13a2f
	.long	311745701                       ; 0x1294dca5
	.long	365684723                       ; 0x15cbe7f3
	.long	1705418876                      ; 0x65a6a07c
	.long	2213749318                      ; 0x83f32246
	;; [unrolled: 1-line block ×4, first 2 shown]
	.long	988348831                       ; 0x3ae9019f
	.long	94258998                        ; 0x59e4736
	.long	2771150272                      ; 0xa52c65c0
	.long	498058526                       ; 0x1dafc51e
	.long	1344827813                      ; 0x502871a5
	.long	2961955291                      ; 0xb08bd9db
	.long	262703473                       ; 0xfa88971
	.long	1404034822                      ; 0x53afdf06
	.long	1566595865                      ; 0x5d605b19
	;; [unrolled: 1-line block ×9, first 2 shown]
	.long	619636751                       ; 0x24eee80f
	.long	3746997351                      ; 0xdf56a467
	.long	4103027837                      ; 0xf48f3c7d
	;; [unrolled: 1-line block ×5, first 2 shown]
	.long	107785753                       ; 0x66cae19
	.long	2779092609                      ; 0xa5a59681
	.long	1869691566                      ; 0x6f713aae
	;; [unrolled: 1-line block ×3, first 2 shown]
	.long	903319808                       ; 0x35d79100
	.long	3273374169                      ; 0xc31bb9d9
	.long	2538926990                      ; 0x9754f38e
	.long	979533870                       ; 0x3a62802e
	.long	1356500860                      ; 0x50da8f7c
	.long	1661983738                      ; 0x630fdbfa
	;; [unrolled: 1-line block ×6, first 2 shown]
	.long	517007606                       ; 0x1ed0e8f6
	.long	1421570516                      ; 0x54bb71d4
	.long	2371447300                      ; 0x8d596a04
	;; [unrolled: 1-line block ×5, first 2 shown]
	.long	788770697                       ; 0x2f03af89
	.long	1854750277                      ; 0x6e8d3e45
	.long	209332297                       ; 0xc7a2849
	.long	1137299679                      ; 0x43c9d0df
	;; [unrolled: 2-line block ×3, first 2 shown]
	.long	4179307312                      ; 0xf91b2b30
	.long	2764470693                      ; 0xa4c679a5
	.long	1353191605                      ; 0x50a810b5
	.long	4166891919                      ; 0xf85db98f
	.long	2074703841                      ; 0x7ba977e1
	.long	3373997532                      ; 0xc91b1ddc
	.long	2013528640                      ; 0x78040240
	.long	701389744                       ; 0x29ce5bb0
	.long	841917592                       ; 0x322ea498
	.long	2065742268                      ; 0x7b20b9bc
	.long	2721848192                      ; 0xa23c1b80
	;; [unrolled: 1-line block ×5, first 2 shown]
	.long	921859028                       ; 0x36f273d4
	.long	4086736376                      ; 0xf396a5f8
	.long	1837462309                      ; 0x6d857325
	;; [unrolled: 1-line block ×4, first 2 shown]
	.long	839037727                       ; 0x3202b31f
	.long	1072086642                      ; 0x3fe6be72
	.long	614518622                       ; 0x24a0cf5e
	.long	3764758228                      ; 0xe065a6d4
	.long	1501128342                      ; 0x59796696
	;; [unrolled: 1-line block ×11, first 2 shown]
	.long	51515980                        ; 0x312124c
	.long	1176526086                      ; 0x46205d06
	.long	3213391582                      ; 0xbf8876de
	;; [unrolled: 1-line block ×4, first 2 shown]
	.long	376085505                       ; 0x166a9c01
	.long	1493749800                      ; 0x5908d028
	.long	3970342143                      ; 0xeca69cff
	;; [unrolled: 1-line block ×6, first 2 shown]
	.long	276747442                       ; 0x107ed4b2
	.long	2776569227                      ; 0xa57f158b
	.long	2992780663                      ; 0xb2623577
	;; [unrolled: 1-line block ×6, first 2 shown]
	.long	661805703                       ; 0x27725a87
	.long	3782305562                      ; 0xe171671a
	.long	9186074                         ; 0x8c2b1a
	.long	2357407210                      ; 0x8c832dea
	.long	2355922343                      ; 0x8c6c85a7
	;; [unrolled: 1-line block ×3, first 2 shown]
	.long	485434612                       ; 0x1cef24f4
	.long	862379913                       ; 0x3366df89
	.long	1029706268                      ; 0x3d60121c
	.long	1512726310                      ; 0x5a2a5f26
	.long	3834948354                      ; 0xe494ab02
	.long	1435892840                      ; 0x5595fc68
	.long	3297980694                      ; 0xc4933116
	.long	2831553800                      ; 0xa8c61508
	.long	2111416471                      ; 0x7dd9a897
	.long	711321697                       ; 0x2a65e861
	.long	3465348660                      ; 0xce8d0634
	.long	3623545008                      ; 0xd7fae8b0
	.long	3505902593                      ; 0xd0f7d401
	.long	838034830                       ; 0x31f3658e
	.long	1553436793                      ; 0x5c979079
	.long	2595329276                      ; 0x9ab194fc
	;; [unrolled: 1-line block ×10, first 2 shown]
	.long	836042976                       ; 0x31d500e0
	.long	3771562484                      ; 0xe0cd79f4
	.long	1508694157                      ; 0x59ecd88d
	;; [unrolled: 1-line block ×7, first 2 shown]
	.long	944408104                       ; 0x384a8628
	.long	2624631280                      ; 0x9c70b1f0
	.long	410746791                       ; 0x187b7fa7
	.long	3737368614                      ; 0xdec3b826
	.long	858809173                       ; 0x33306355
	.long	2289802345                      ; 0x887b9c69
	.long	2428186575                      ; 0x90bb2fcf
	.long	1542325976                      ; 0x5bee06d8
	.long	716011303                       ; 0x2aad7727
	.long	3443810690                      ; 0xcd446182
	.long	814132610                       ; 0x3086ad82
	.long	517432787                       ; 0x1ed765d3
	.long	1649301063                      ; 0x624e5647
	.long	2930433345                      ; 0xaeaadd41
	.long	291178098                       ; 0x115b0672
	.long	2117644502                      ; 0x7e38b0d6
	.long	2749446703                      ; 0xa3e13a2f
	;; [unrolled: 1-line block ×3, first 2 shown]
	.long	365684723                       ; 0x15cbe7f3
	.long	1705418876                      ; 0x65a6a07c
	.long	2213749318                      ; 0x83f32246
	;; [unrolled: 1-line block ×4, first 2 shown]
	.long	988348831                       ; 0x3ae9019f
	.long	94258998                        ; 0x59e4736
	.long	2771150272                      ; 0xa52c65c0
	.long	498058526                       ; 0x1dafc51e
	.long	3314106168                      ; 0xc5893f38
	.long	2961955291                      ; 0xb08bd9db
	.long	262703473                       ; 0xfa88971
	.long	1404034822                      ; 0x53afdf06
	.long	1566595865                      ; 0x5d605b19
	;; [unrolled: 1-line block ×9, first 2 shown]
	.long	619636751                       ; 0x24eee80f
	.long	3746997351                      ; 0xdf56a467
	.long	4103027837                      ; 0xf48f3c7d
	;; [unrolled: 1-line block ×5, first 2 shown]
	.long	107785753                       ; 0x66cae19
	.long	2779092609                      ; 0xa5a59681
	.long	1608451840                      ; 0x5fdf0700
	;; [unrolled: 1-line block ×3, first 2 shown]
	.long	903319808                       ; 0x35d79100
	.long	3273374169                      ; 0xc31bb9d9
	.long	2538926990                      ; 0x9754f38e
	.long	645164419                       ; 0x26746d83
	.long	1356500860                      ; 0x50da8f7c
	.long	1661983738                      ; 0x630fdbfa
	;; [unrolled: 1-line block ×6, first 2 shown]
	.long	517007606                       ; 0x1ed0e8f6
	.long	1421570516                      ; 0x54bb71d4
	.long	2371447300                      ; 0x8d596a04
	;; [unrolled: 1-line block ×5, first 2 shown]
	.long	788770697                       ; 0x2f03af89
	.long	1854750277                      ; 0x6e8d3e45
	.long	1345251011                      ; 0x502ee6c3
	;; [unrolled: 1-line block ×3, first 2 shown]
	.long	848527832                       ; 0x329381d8
	.long	3850486924                      ; 0xe581c48c
	.long	4179307312                      ; 0xf91b2b30
	;; [unrolled: 1-line block ×7, first 2 shown]
	.long	183447754                       ; 0xaef30ca
	.long	701389744                       ; 0x29ce5bb0
	;; [unrolled: 1-line block ×3, first 2 shown]
	.long	2065742268                      ; 0x7b20b9bc
	.long	2721848192                      ; 0xa23c1b80
	;; [unrolled: 1-line block ×5, first 2 shown]
	.long	921859028                       ; 0x36f273d4
	.long	4086736376                      ; 0xf396a5f8
	.long	2212730874                      ; 0x83e397fa
	.long	2579826431                      ; 0x99c506ff
	.long	2436217134                      ; 0x9135b92e
	.long	839037727                       ; 0x3202b31f
	.long	1072086642                      ; 0x3fe6be72
	.long	55934784                        ; 0x3557f40
	.long	3764758228                      ; 0xe065a6d4
	.long	1501128342                      ; 0x59796696
	;; [unrolled: 1-line block ×4, first 2 shown]
	.long	516550987                       ; 0x1ec9f14b
	.long	3268308948                      ; 0xc2ce6fd4
	.long	3337564231                      ; 0xc6ef3047
	;; [unrolled: 1-line block ×6, first 2 shown]
	.long	51515980                        ; 0x312124c
	.long	1176526086                      ; 0x46205d06
	.long	3213391582                      ; 0xbf8876de
	;; [unrolled: 1-line block ×4, first 2 shown]
	.long	376085505                       ; 0x166a9c01
	.long	1493749800                      ; 0x5908d028
	.long	3970342143                      ; 0xeca69cff
	;; [unrolled: 1-line block ×6, first 2 shown]
	.long	276747442                       ; 0x107ed4b2
	.long	2991976613                      ; 0xb255f0a5
	.long	2992780663                      ; 0xb2623577
	;; [unrolled: 1-line block ×6, first 2 shown]
	.long	661805703                       ; 0x27725a87
	.long	3782305562                      ; 0xe171671a
	.long	9186074                         ; 0x8c2b1a
	.long	2357407210                      ; 0x8c832dea
	.long	1942736967                      ; 0x73cbd047
	;; [unrolled: 1-line block ×3, first 2 shown]
	.long	485434612                       ; 0x1cef24f4
	.long	862379913                       ; 0x3366df89
	.long	1029706268                      ; 0x3d60121c
	.long	4122704494                      ; 0xf5bb7a6e
	;; [unrolled: 1-line block ×7, first 2 shown]
	.long	711321697                       ; 0x2a65e861
	.long	3465348660                      ; 0xce8d0634
	.long	3623545008                      ; 0xd7fae8b0
	;; [unrolled: 1-line block ×14, first 2 shown]
	.long	836042976                       ; 0x31d500e0
	.long	3771562484                      ; 0xe0cd79f4
	.long	1508694157                      ; 0x59ecd88d
	;; [unrolled: 1-line block ×7, first 2 shown]
	.long	944408104                       ; 0x384a8628
	.long	1854555112                      ; 0x6e8a43e8
	.long	410746791                       ; 0x187b7fa7
	.long	3737368614                      ; 0xdec3b826
	;; [unrolled: 2-line block ×3, first 2 shown]
	.long	3622671731                      ; 0xd7ed9573
	.long	1542325976                      ; 0x5bee06d8
	.long	716011303                       ; 0x2aad7727
	.long	3443810690                      ; 0xcd446182
	.long	814132610                       ; 0x3086ad82
	.long	296197011                       ; 0x11a79b93
	.long	1649301063                      ; 0x624e5647
	.long	2930433345                      ; 0xaeaadd41
	.long	291178098                       ; 0x115b0672
	.long	2117644502                      ; 0x7e38b0d6
	.long	1056271538                      ; 0x3ef56cb2
	;; [unrolled: 1-line block ×3, first 2 shown]
	.long	365684723                       ; 0x15cbe7f3
	.long	1705418876                      ; 0x65a6a07c
	.long	2213749318                      ; 0x83f32246
	;; [unrolled: 1-line block ×4, first 2 shown]
	.long	988348831                       ; 0x3ae9019f
	.long	94258998                        ; 0x59e4736
	.long	2771150272                      ; 0xa52c65c0
	.long	3669902097                      ; 0xdabe4311
	;; [unrolled: 1-line block ×4, first 2 shown]
	.long	262703473                       ; 0xfa88971
	.long	1404034822                      ; 0x53afdf06
	.long	1654433938                      ; 0x629ca892
	;; [unrolled: 1-line block ×9, first 2 shown]
	.long	619636751                       ; 0x24eee80f
	.long	3746997351                      ; 0xdf56a467
	.long	1454088394                      ; 0x56aba0ca
	;; [unrolled: 1-line block ×5, first 2 shown]
	.long	107785753                       ; 0x66cae19
	.long	689323470                       ; 0x29163dce
	.long	1608451840                      ; 0x5fdf0700
	.long	2555219983                      ; 0x984d900f
	.long	903319808                       ; 0x35d79100
	.long	3273374169                      ; 0xc31bb9d9
	.long	1603842392                      ; 0x5f98b158
	;; [unrolled: 3-line block ×3, first 2 shown]
	.long	1380761625                      ; 0x524cc019
	.long	2814639423                      ; 0xa7c3fd3f
	;; [unrolled: 1-line block ×4, first 2 shown]
	.long	517007606                       ; 0x1ed0e8f6
	.long	1421570516                      ; 0x54bb71d4
	.long	1938805701                      ; 0x738fd3c5
	;; [unrolled: 1-line block ×5, first 2 shown]
	.long	788770697                       ; 0x2f03af89
	.long	4238900666                      ; 0xfca87dba
	.long	1345251011                      ; 0x502ee6c3
	;; [unrolled: 1-line block ×3, first 2 shown]
	.long	848527832                       ; 0x329381d8
	.long	3850486924                      ; 0xe581c48c
	.long	108793827                       ; 0x67c0fe3
	.long	3576574608                      ; 0xd52e3290
	.long	1353191605                      ; 0x50a810b5
	.long	4166891919                      ; 0xf85db98f
	.long	2074703841                      ; 0x7ba977e1
	.long	3780897861                      ; 0xe15bec45
	.long	183447754                       ; 0xaef30ca
	.long	701389744                       ; 0x29ce5bb0
	;; [unrolled: 1-line block ×3, first 2 shown]
	.long	2065742268                      ; 0x7b20b9bc
	.long	3036602746                      ; 0xb4fee17a
	;; [unrolled: 1-line block ×5, first 2 shown]
	.long	921859028                       ; 0x36f273d4
	.long	3499985398                      ; 0xd09d89f6
	.long	2212730874                      ; 0x83e397fa
	;; [unrolled: 1-line block ×4, first 2 shown]
	.long	839037727                       ; 0x3202b31f
	.long	3520354700                      ; 0xd1d4598c
	.long	55934784                        ; 0x3557f40
	.long	3764758228                      ; 0xe065a6d4
	.long	1501128342                      ; 0x59796696
	;; [unrolled: 1-line block ×4, first 2 shown]
	.long	516550987                       ; 0x1ec9f14b
	.long	3268308948                      ; 0xc2ce6fd4
	.long	3337564231                      ; 0xc6ef3047
	;; [unrolled: 1-line block ×6, first 2 shown]
	.long	51515980                        ; 0x312124c
	.long	1176526086                      ; 0x46205d06
	.long	3602010532                      ; 0xd6b251a4
	;; [unrolled: 1-line block ×4, first 2 shown]
	.long	376085505                       ; 0x166a9c01
	.long	1493749800                      ; 0x5908d028
	.long	2922957328                      ; 0xae38ca10
	;; [unrolled: 1-line block ×13, first 2 shown]
	.long	661805703                       ; 0x27725a87
	.long	3782305562                      ; 0xe171671a
	.long	9186074                         ; 0x8c2b1a
	.long	320781315                       ; 0x131ebc03
	.long	1942736967                      ; 0x73cbd047
	.long	2024733363                      ; 0x78aefab3
	.long	485434612                       ; 0x1cef24f4
	.long	862379913                       ; 0x3366df89
	.long	3598892066                      ; 0xd682bc22
	.long	4122704494                      ; 0xf5bb7a6e
	;; [unrolled: 1-line block ×5, first 2 shown]
	.long	545184652                       ; 0x207edb8c
	.long	1210092654                      ; 0x48208c6e
	.long	711321697                       ; 0x2a65e861
	.long	3465348660                      ; 0xce8d0634
	.long	3623545008                      ; 0xd7fae8b0
	;; [unrolled: 1-line block ×14, first 2 shown]
	.long	836042976                       ; 0x31d500e0
	.long	3771562484                      ; 0xe0cd79f4
	.long	1508694157                      ; 0x59ecd88d
	;; [unrolled: 1-line block ×9, first 2 shown]
	.long	410746791                       ; 0x187b7fa7
	.long	3737368614                      ; 0xdec3b826
	.long	858809173                       ; 0x33306355
	.long	525745365                       ; 0x1f563cd5
	.long	3622671731                      ; 0xd7ed9573
	.long	1542325976                      ; 0x5bee06d8
	.long	716011303                       ; 0x2aad7727
	.long	3443810690                      ; 0xcd446182
	.long	566299749                       ; 0x21c10c65
	.long	296197011                       ; 0x11a79b93
	.long	1649301063                      ; 0x624e5647
	.long	2930433345                      ; 0xaeaadd41
	.long	291178098                       ; 0x115b0672
	.long	1987532525                      ; 0x767756ed
	.long	1056271538                      ; 0x3ef56cb2
	;; [unrolled: 1-line block ×3, first 2 shown]
	.long	365684723                       ; 0x15cbe7f3
	.long	1705418876                      ; 0x65a6a07c
	.long	2321222760                      ; 0x8a5b0c68
	;; [unrolled: 1-line block ×4, first 2 shown]
	.long	988348831                       ; 0x3ae9019f
	.long	94258998                        ; 0x59e4736
	.long	2986060366                      ; 0xb1fbaa4e
	.long	3669902097                      ; 0xdabe4311
	;; [unrolled: 1-line block ×4, first 2 shown]
	.long	262703473                       ; 0xfa88971
	.long	604452796                       ; 0x240737bc
	.long	1654433938                      ; 0x629ca892
	.long	3590367097                      ; 0xd600a779
	;; [unrolled: 1-line block ×8, first 2 shown]
	.long	619636751                       ; 0x24eee80f
	.long	6680729                         ; 0x65f099
	.long	1454088394                      ; 0x56aba0ca
	.long	2785398766                      ; 0xa605cfee
	;; [unrolled: 1-line block ×5, first 2 shown]
	.long	689323470                       ; 0x29163dce
	.long	1608451840                      ; 0x5fdf0700
	.long	2555219983                      ; 0x984d900f
	.long	903319808                       ; 0x35d79100
	.long	3430384385                      ; 0xcc778301
	.long	1603842392                      ; 0x5f98b158
	;; [unrolled: 3-line block ×3, first 2 shown]
	.long	2108736152                      ; 0x7db0c298
	.long	2814639423                      ; 0xa7c3fd3f
	;; [unrolled: 1-line block ×4, first 2 shown]
	.long	517007606                       ; 0x1ed0e8f6
	.long	2973658959                      ; 0xb13e6f4f
	.long	1938805701                      ; 0x738fd3c5
	;; [unrolled: 1-line block ×9, first 2 shown]
	.long	848527832                       ; 0x329381d8
	.long	45551112                        ; 0x2b70e08
	.long	108793827                       ; 0x67c0fe3
	.long	3576574608                      ; 0xd52e3290
	.long	1353191605                      ; 0x50a810b5
	;; [unrolled: 1-line block ×5, first 2 shown]
	.long	183447754                       ; 0xaef30ca
	.long	701389744                       ; 0x29ce5bb0
	;; [unrolled: 1-line block ×3, first 2 shown]
	.long	3830639316                      ; 0xe452ead4
	.long	3036602746                      ; 0xb4fee17a
	.long	2109289891                      ; 0x7db935a3
	.long	3122896007                      ; 0xba239c87
	.long	1090761479                      ; 0x4103b307
	.long	1931255897                      ; 0x731ca059
	.long	3499985398                      ; 0xd09d89f6
	.long	2212730874                      ; 0x83e397fa
	.long	2579826431                      ; 0x99c506ff
	.long	2436217134                      ; 0x9135b92e
	.long	3272166055                      ; 0xc3094aa7
	.long	3520354700                      ; 0xd1d4598c
	.long	55934784                        ; 0x3557f40
	.long	3764758228                      ; 0xe065a6d4
	.long	1501128342                      ; 0x59796696
	.long	1567864246                      ; 0x5d73b5b6
	.long	1601010847                      ; 0x5f6d7c9f
	.long	516550987                       ; 0x1ec9f14b
	.long	3268308948                      ; 0xc2ce6fd4
	.long	3337564231                      ; 0xc6ef3047
	;; [unrolled: 1-line block ×6, first 2 shown]
	.long	51515980                        ; 0x312124c
	.long	3551394489                      ; 0xd3adfab9
	.long	3602010532                      ; 0xd6b251a4
	;; [unrolled: 1-line block ×4, first 2 shown]
	.long	376085505                       ; 0x166a9c01
	.long	885459498                       ; 0x34c70a2a
	.long	2922957328                      ; 0xae38ca10
	.long	3190791788                      ; 0xbe2f9e6c
	;; [unrolled: 1-line block ×12, first 2 shown]
	.long	661805703                       ; 0x27725a87
	.long	3782305562                      ; 0xe171671a
	.long	2163075465                      ; 0x80ede989
	.long	320781315                       ; 0x131ebc03
	.long	1942736967                      ; 0x73cbd047
	.long	2024733363                      ; 0x78aefab3
	;; [unrolled: 3-line block ×3, first 2 shown]
	.long	4122704494                      ; 0xf5bb7a6e
	.long	3834948354                      ; 0xe494ab02
	;; [unrolled: 1-line block ×6, first 2 shown]
	.long	673530532                       ; 0x282542a4
	.long	493730767                       ; 0x1d6dbbcf
	.long	1124557747                      ; 0x430763b3
	.long	1908629439                      ; 0x71c35fbf
	;; [unrolled: 1-line block ×15, first 2 shown]
	.long	364370737                       ; 0x15b7db31
	.long	1893001758                      ; 0x70d4ea1e
	.long	2608875275                      ; 0x9b80470b
	.long	4224057183                      ; 0xfbc5ff5f
	.long	3546705413                      ; 0xd3666e05
	.long	1999778009                      ; 0x773230d9
	.long	348872225                       ; 0x14cb5e21
	.long	2470564216                      ; 0x9341d178
	.long	1417878284                      ; 0x54831b0c
	;; [unrolled: 1-line block ×7, first 2 shown]
	.long	391544737                       ; 0x17567fa1
	.long	2056567354                      ; 0x7a94ba3a
	.long	737657378                       ; 0x2bf7c222
	.long	3877904725                      ; 0xe7242155
	;; [unrolled: 2-line block ×3, first 2 shown]
	.long	3383278785                      ; 0xc9a8bcc1
	.long	1047197514                      ; 0x3e6af74a
	.long	649468151                       ; 0x26b618f7
	.long	3452867243                      ; 0xcdce92ab
	.long	1792089520                      ; 0x6ad11db0
	.long	63936215                        ; 0x3cf96d7
	.long	3909143729                      ; 0xe900ccb1
	.long	3753489875                      ; 0xdfb9b5d3
	.long	734314122                       ; 0x2bc4be8a
	.long	2490530916                      ; 0x94727c64
	.long	3043874586                      ; 0xb56dd71a
	;; [unrolled: 1-line block ×3, first 2 shown]
	.long	59001199                        ; 0x384496f
	.long	2493748676                      ; 0x94a395c4
	.long	2552438622                      ; 0x98231f5e
	;; [unrolled: 1-line block ×6, first 2 shown]
	.long	816106718                       ; 0x30a4ccde
	.long	2176130406                      ; 0x81b51d66
	.long	640254735                       ; 0x2629830f
	.long	12376903                        ; 0xbcdb47
	.long	3000264936                      ; 0xb2d468e8
	.long	3304116079                      ; 0xc4f0cf6f
	;; [unrolled: 1-line block ×11, first 2 shown]
	.long	633510901                       ; 0x25c29bf5
	.long	2312190757                      ; 0x89d13b25
	.long	402878244                       ; 0x18036f24
	.long	2501565021                      ; 0x951ada5d
	.long	2984409334                      ; 0xb1e278f6
	;; [unrolled: 1-line block ×5, first 2 shown]
	.long	971722322                       ; 0x39eb4e52
	.long	3065543880                      ; 0xb6b87cc8
	.long	2307584190                      ; 0x898af0be
	.long	491480322                       ; 0x1d4b6502
	.long	2068673112                      ; 0x7b4d7258
	.long	1929780632                      ; 0x73061d98
	.long	178549964                       ; 0xaa474cc
	.long	983979983                       ; 0x3aa657cf
	.long	2769314886                      ; 0xa5106446
	.long	4214442042                      ; 0xfb33483a
	.long	2977609682                      ; 0xb17ab7d2
	.long	25450683                        ; 0x18458bb
	.long	3075212658                      ; 0xb74c0572
	.long	1571149568                      ; 0x5da5d700
	.long	3531670561                      ; 0xd2810421
	.long	42782504                        ; 0x28ccf28
	.long	425601306                       ; 0x195e291a
	.long	428715214                       ; 0x198dacce
	;; [unrolled: 1-line block ×5, first 2 shown]
	.long	1786382125                      ; 0x6a7a072d
	.long	2712003995                      ; 0xa1a5e59b
	;; [unrolled: 1-line block ×4, first 2 shown]
	.long	404822980                       ; 0x18211bc4
	.long	3953184772                      ; 0xeba0d004
	.long	1655231947                      ; 0x62a8d5cb
	;; [unrolled: 1-line block ×16, first 2 shown]
	.long	120332643                       ; 0x72c2163
	.long	1219374788                      ; 0x48ae2ec4
	.long	3608889019                      ; 0xd71b46bb
	;; [unrolled: 1-line block ×3, first 2 shown]
	.long	858495304                       ; 0x332b9948
	.long	1284785543                      ; 0x4c944587
	.long	331370962                       ; 0x13c051d2
	.long	2259419662                      ; 0x86ac020e
	.long	2519864134                      ; 0x96321346
	;; [unrolled: 1-line block ×7, first 2 shown]
	.long	265068954                       ; 0xfcca19a
	.long	1464416963                      ; 0x57493ac3
	.long	1232787612                      ; 0x497ad89c
	.long	4160089759                      ; 0xf7f5ee9f
	.long	2510685972                      ; 0x95a60714
	.long	670300081                       ; 0x27f3f7b1
	.long	2509357766                      ; 0x9591c2c6
	.long	1981891975                      ; 0x76214587
	;; [unrolled: 1-line block ×4, first 2 shown]
	.long	44760868                        ; 0x2aaff24
	.long	634955171                       ; 0x25d8a5a3
	.long	1187096933                      ; 0x46c1a965
	.long	3324788972                      ; 0xc62c40ec
	;; [unrolled: 1-line block ×7, first 2 shown]
	.long	741409141                       ; 0x2c310175
	.long	3649731355                      ; 0xd98a7b1b
	.long	1025429529                      ; 0x3d1ed019
	.long	91444490                        ; 0x573550a
	.long	628576944                       ; 0x257752b0
	.long	4069219862                      ; 0xf28b5e16
	.long	2253058925                      ; 0x864af36d
	.long	492354082                       ; 0x1d58ba22
	.long	1191182242                      ; 0x46ffffa2
	.long	1565180119                      ; 0x5d4ac0d7
	;; [unrolled: 1-line block ×3, first 2 shown]
	.long	456055162                       ; 0x1b2ed97a
	.long	605712223                       ; 0x241a6f5f
	;; [unrolled: 1-line block ×3, first 2 shown]
	.long	3104638527                      ; 0xb90d063f
	.long	1133984729                      ; 0x43973bd9
	;; [unrolled: 1-line block ×5, first 2 shown]
	.long	843719355                       ; 0x324a22bb
	.long	588432962                       ; 0x2312c642
	.long	1734575434                      ; 0x6763854a
	.long	2924140067                      ; 0xae4ad623
	.long	483396548                       ; 0x1cd00bc4
	.long	3848838894                      ; 0xe5689eee
	.long	3155476556                      ; 0xbc14c04c
	;; [unrolled: 1-line block ×15, first 2 shown]
	.long	716404149                       ; 0x2ab375b5
	.long	1646021208                      ; 0x621c4a58
	.long	3534932385                      ; 0xd2b2c9a1
	;; [unrolled: 1-line block ×3, first 2 shown]
	.long	651997355                       ; 0x26dcb0ab
	.long	282914223                       ; 0x10dcedaf
	;; [unrolled: 1-line block ×3, first 2 shown]
	.long	3764407517                      ; 0xe0604cdd
	.long	1059868753                      ; 0x3f2c5051
	;; [unrolled: 1-line block ×3, first 2 shown]
	.long	978904005                       ; 0x3a58e3c5
	.long	976413661                       ; 0x3a32e3dd
	.long	4039544152                      ; 0xf0c68d58
	.long	498989693                       ; 0x1dbdfa7d
	.long	2565125471                      ; 0x98e4b55f
	.long	2782642813                      ; 0xa5dbc27d
	;; [unrolled: 1-line block ×4, first 2 shown]
	.long	169217024                       ; 0xa160c00
	.long	3491609                         ; 0x354719
	.long	1319592872                      ; 0x4ea763a8
	.long	1630206561                      ; 0x612afa61
	;; [unrolled: 1-line block ×10, first 2 shown]
	.long	691091062                       ; 0x29313676
	.long	1079640113                      ; 0x405a0031
	.long	1417637732                      ; 0x547f6f64
	;; [unrolled: 1-line block ×6, first 2 shown]
	.long	959936499                       ; 0x393777f3
	.long	2844551811                      ; 0xa98c6a83
	.long	2272766890                      ; 0x8777abaa
	.long	31122394                        ; 0x1dae3da
	.long	2742925483                      ; 0xa37db8ab
	.long	1121884686                      ; 0x42de9a0e
	.long	57929089                        ; 0x373ed81
	.long	2468361281                      ; 0x93203441
	.long	2982007782                      ; 0xb1bdd3e6
	;; [unrolled: 1-line block ×3, first 2 shown]
	.long	177782593                       ; 0xa98bf41
	.long	3603584577                      ; 0xd6ca5641
	.long	672057044                       ; 0x280ec6d4
	.long	2108452841                      ; 0x7dac6fe9
	.long	1671338057                      ; 0x639e9849
	;; [unrolled: 1-line block ×4, first 2 shown]
	.long	805157552                       ; 0x2ffdbab0
	.long	1271858417                      ; 0x4bcf04f1
	.long	1621249501                      ; 0x60a24ddd
	;; [unrolled: 1-line block ×4, first 2 shown]
	.long	751773221                       ; 0x2ccf2625
	.long	1517221627                      ; 0x5a6ef6fb
	.long	822709871                       ; 0x31098e6f
	.long	104533154                       ; 0x63b0ca2
	.long	3578182264                      ; 0xd546ba78
	.long	640541709                       ; 0x262de40d
	.long	421086624                       ; 0x191945a0
	.long	4233576392                      ; 0xfc573fc8
	.long	3729339369                      ; 0xde4933e9
	.long	197460644                       ; 0xbc502a4
	.long	773140636                       ; 0x2e15309c
	.long	2158026018                      ; 0x80a0dd22
	.long	1756785611                      ; 0x68b66bcb
	;; [unrolled: 1-line block ×4, first 2 shown]
	.long	736117181                       ; 0x2be041bd
	.long	2456162322                      ; 0x92661012
	.long	1168189787                      ; 0x45a1295b
	;; [unrolled: 1-line block ×4, first 2 shown]
	.long	268231205                       ; 0xffce225
	.long	541474497                       ; 0x20463ec1
	.long	3316168972                      ; 0xc5a8b90c
	.long	3546990856                      ; 0xd36ac908
	.long	830417208                       ; 0x317f2938
	.long	725960194                       ; 0x2b454602
	.long	2044207227                      ; 0x79d8207b
	.long	3188997938                      ; 0xbe143f32
	;; [unrolled: 1-line block ×7, first 2 shown]
	.long	749371711                       ; 0x2caa813f
	.long	766611716                       ; 0x2db19104
	;; [unrolled: 1-line block ×3, first 2 shown]
	.long	2139882719                      ; 0x7f8c04df
	.long	2062405428                      ; 0x7aedcf34
	;; [unrolled: 1-line block ×4, first 2 shown]
	.long	223311969                       ; 0xd4f7861
	.long	2622859522                      ; 0x9c55a902
	.long	3888492701                      ; 0xe7c5b09d
	;; [unrolled: 1-line block ×3, first 2 shown]
	.long	582625650                       ; 0x22ba2972
	.long	3563756446                      ; 0xd46a9b9e
	.long	2886083960                      ; 0xac062578
	;; [unrolled: 1-line block ×3, first 2 shown]
	.long	454650902                       ; 0x1b196c16
	.long	3287277541                      ; 0xc3efdfe5
	.long	625828138                       ; 0x254d612a
	.long	2991888140                      ; 0xb254970c
	.long	1935326370                      ; 0x735abca2
	;; [unrolled: 1-line block ×3, first 2 shown]
	.long	702881509                       ; 0x29e51ee5
	.long	1427632724                      ; 0x5517f254
	.long	1345475301                      ; 0x503252e5
	;; [unrolled: 1-line block ×5, first 2 shown]
	.long	185662179                       ; 0xb10fae3
	.long	536505093                       ; 0x1ffa6b05
	.long	3747894147                      ; 0xdf645383
	.long	111551030                       ; 0x6a62236
	.long	370373207                       ; 0x16137257
	.long	2293908590                      ; 0x88ba446e
	.long	91444490                        ; 0x573550a
	.long	628576944                       ; 0x257752b0
	.long	4069219862                      ; 0xf28b5e16
	.long	2253058925                      ; 0x864af36d
	;; [unrolled: 1-line block ×6, first 2 shown]
	.long	456055162                       ; 0x1b2ed97a
	.long	3411094744                      ; 0xcb512cd8
	.long	953365104                       ; 0x38d33270
	.long	3104638527                      ; 0xb90d063f
	.long	1133984729                      ; 0x43973bd9
	;; [unrolled: 1-line block ×5, first 2 shown]
	.long	843719355                       ; 0x324a22bb
	.long	588432962                       ; 0x2312c642
	.long	1734575434                      ; 0x6763854a
	.long	3293926122                      ; 0xc45552ea
	.long	483396548                       ; 0x1cd00bc4
	.long	3848838894                      ; 0xe5689eee
	.long	3155476556                      ; 0xbc14c04c
	;; [unrolled: 1-line block ×3, first 2 shown]
	.long	146876953                       ; 0x8c12a19
	.long	3279827269                      ; 0xc37e3145
	.long	2644461735                      ; 0x9d9f48a7
	;; [unrolled: 1-line block ×11, first 2 shown]
	.long	716404149                       ; 0x2ab375b5
	.long	1646021208                      ; 0x621c4a58
	.long	3534932385                      ; 0xd2b2c9a1
	;; [unrolled: 1-line block ×3, first 2 shown]
	.long	651997355                       ; 0x26dcb0ab
	.long	282914223                       ; 0x10dcedaf
	;; [unrolled: 1-line block ×3, first 2 shown]
	.long	3764407517                      ; 0xe0604cdd
	.long	1275979651                      ; 0x4c0de783
	.long	1971798134                      ; 0x75874076
	.long	978904005                       ; 0x3a58e3c5
	.long	976413661                       ; 0x3a32e3dd
	.long	4039544152                      ; 0xf0c68d58
	.long	300654823                       ; 0x11eba0e7
	.long	2565125471                      ; 0x98e4b55f
	.long	2782642813                      ; 0xa5dbc27d
	;; [unrolled: 1-line block ×5, first 2 shown]
	.long	3491609                         ; 0x354719
	.long	1319592872                      ; 0x4ea763a8
	.long	1630206561                      ; 0x612afa61
	;; [unrolled: 1-line block ×10, first 2 shown]
	.long	691091062                       ; 0x29313676
	.long	1079640113                      ; 0x405a0031
	.long	1417637732                      ; 0x547f6f64
	.long	17137237                        ; 0x1057e55
	.long	2197910648                      ; 0x83017478
	.long	2310382370                      ; 0x89b5a322
	;; [unrolled: 1-line block ×3, first 2 shown]
	.long	959936499                       ; 0x393777f3
	.long	802137134                       ; 0x2fcfa42e
	.long	2272766890                      ; 0x8777abaa
	.long	31122394                        ; 0x1dae3da
	.long	2742925483                      ; 0xa37db8ab
	.long	1121884686                      ; 0x42de9a0e
	;; [unrolled: 1-line block ×6, first 2 shown]
	.long	177782593                       ; 0xa98bf41
	.long	3319492525                      ; 0xc5db6fad
	.long	672057044                       ; 0x280ec6d4
	.long	2108452841                      ; 0x7dac6fe9
	.long	1671338057                      ; 0x639e9849
	.long	3386908223                      ; 0xc9e01e3f
	.long	1878151473                      ; 0x6ff25131
	.long	805157552                       ; 0x2ffdbab0
	.long	1271858417                      ; 0x4bcf04f1
	.long	1621249501                      ; 0x60a24ddd
	;; [unrolled: 1-line block ×4, first 2 shown]
	.long	751773221                       ; 0x2ccf2625
	.long	1517221627                      ; 0x5a6ef6fb
	.long	822709871                       ; 0x31098e6f
	.long	104533154                       ; 0x63b0ca2
	;; [unrolled: 1-line block ×5, first 2 shown]
	.long	4233576392                      ; 0xfc573fc8
	.long	3729339369                      ; 0xde4933e9
	;; [unrolled: 1-line block ×3, first 2 shown]
	.long	773140636                       ; 0x2e15309c
	.long	2158026018                      ; 0x80a0dd22
	.long	1756785611                      ; 0x68b66bcb
	;; [unrolled: 1-line block ×3, first 2 shown]
	.long	587202971                       ; 0x2300019b
	.long	736117181                       ; 0x2be041bd
	.long	2456162322                      ; 0x92661012
	.long	1168189787                      ; 0x45a1295b
	;; [unrolled: 1-line block ×4, first 2 shown]
	.long	268231205                       ; 0xffce225
	.long	541474497                       ; 0x20463ec1
	.long	3316168972                      ; 0xc5a8b90c
	.long	3546990856                      ; 0xd36ac908
	;; [unrolled: 1-line block ×3, first 2 shown]
	.long	725960194                       ; 0x2b454602
	.long	2044207227                      ; 0x79d8207b
	.long	3188997938                      ; 0xbe143f32
	;; [unrolled: 1-line block ×7, first 2 shown]
	.long	749371711                       ; 0x2caa813f
	.long	2163964019                      ; 0x80fb7873
	.long	598195098                       ; 0x23a7bb9a
	.long	2139882719                      ; 0x7f8c04df
	.long	2062405428                      ; 0x7aedcf34
	;; [unrolled: 1-line block ×4, first 2 shown]
	.long	223311969                       ; 0xd4f7861
	.long	2622859522                      ; 0x9c55a902
	.long	3888492701                      ; 0xe7c5b09d
	.long	2955257225                      ; 0xb025a589
	.long	740986174                       ; 0x2c2a8d3e
	.long	3563756446                      ; 0xd46a9b9e
	.long	2886083960                      ; 0xac062578
	.long	1907546514                      ; 0x71b2d992
	.long	454650902                       ; 0x1b196c16
	.long	2426323587                      ; 0x909ec283
	.long	625828138                       ; 0x254d612a
	.long	2991888140                      ; 0xb254970c
	.long	1935326370                      ; 0x735abca2
	;; [unrolled: 1-line block ×9, first 2 shown]
	.long	185662179                       ; 0xb10fae3
	.long	536505093                       ; 0x1ffa6b05
	.long	3747894147                      ; 0xdf645383
	.long	111551030                       ; 0x6a62236
	.long	4131587422                      ; 0xf643055e
	.long	2293908590                      ; 0x88ba446e
	.long	91444490                        ; 0x573550a
	.long	628576944                       ; 0x257752b0
	.long	4069219862                      ; 0xf28b5e16
	.long	2408189350                      ; 0x8f8a0da6
	;; [unrolled: 1-line block ×8, first 2 shown]
	.long	953365104                       ; 0x38d33270
	.long	3104638527                      ; 0xb90d063f
	.long	1133984729                      ; 0x43973bd9
	.long	631497759                       ; 0x25a3e41f
	.long	2000630022                      ; 0x773f3106
	.long	1921384447                      ; 0x7285ffff
	.long	843719355                       ; 0x324a22bb
	.long	588432962                       ; 0x2312c642
	.long	3280318959                      ; 0xc385b1ef
	.long	3293926122                      ; 0xc45552ea
	.long	483396548                       ; 0x1cd00bc4
	.long	3848838894                      ; 0xe5689eee
	.long	3155476556                      ; 0xbc14c04c
	;; [unrolled: 1-line block ×3, first 2 shown]
	.long	146876953                       ; 0x8c12a19
	.long	3279827269                      ; 0xc37e3145
	.long	2644461735                      ; 0x9d9f48a7
	;; [unrolled: 1-line block ×11, first 2 shown]
	.long	716404149                       ; 0x2ab375b5
	.long	1646021208                      ; 0x621c4a58
	.long	3102243824                      ; 0xb8e87bf0
	;; [unrolled: 1-line block ×3, first 2 shown]
	.long	651997355                       ; 0x26dcb0ab
	.long	282914223                       ; 0x10dcedaf
	;; [unrolled: 1-line block ×3, first 2 shown]
	.long	3767702588                      ; 0xe092943c
	.long	1275979651                      ; 0x4c0de783
	;; [unrolled: 1-line block ×3, first 2 shown]
	.long	978904005                       ; 0x3a58e3c5
	.long	976413661                       ; 0x3a32e3dd
	.long	1951622548                      ; 0x74536594
	.long	300654823                       ; 0x11eba0e7
	.long	2565125471                      ; 0x98e4b55f
	.long	2782642813                      ; 0xa5dbc27d
	.long	3537961025                      ; 0xd2e10041
	.long	2186817324                      ; 0x82582f2c
	.long	3123973648                      ; 0xba340e10
	.long	3491609                         ; 0x354719
	.long	1319592872                      ; 0x4ea763a8
	.long	1630206561                      ; 0x612afa61
	;; [unrolled: 1-line block ×7, first 2 shown]
	.long	207992406                       ; 0xc65b656
	.long	2153172585                      ; 0x8056ce69
	.long	2664450619                      ; 0x9ed04a3b
	.long	691091062                       ; 0x29313676
	.long	1079640113                      ; 0x405a0031
	.long	3114255216                      ; 0xb99fc370
	.long	17137237                        ; 0x1057e55
	.long	2197910648                      ; 0x83017478
	.long	2310382370                      ; 0x89b5a322
	;; [unrolled: 1-line block ×4, first 2 shown]
	.long	802137134                       ; 0x2fcfa42e
	.long	2272766890                      ; 0x8777abaa
	.long	31122394                        ; 0x1dae3da
	.long	2742925483                      ; 0xa37db8ab
	.long	4069482373                      ; 0xf28f5f85
	;; [unrolled: 1-line block ×8, first 2 shown]
	.long	672057044                       ; 0x280ec6d4
	.long	2108452841                      ; 0x7dac6fe9
	.long	1671338057                      ; 0x639e9849
	.long	12831353                        ; 0xc3ca79
	.long	1878151473                      ; 0x6ff25131
	.long	805157552                       ; 0x2ffdbab0
	.long	1271858417                      ; 0x4bcf04f1
	.long	1621249501                      ; 0x60a24ddd
	.long	461887094                       ; 0x1b87d676
	.long	3215921223                      ; 0xbfaf1047
	.long	751773221                       ; 0x2ccf2625
	;; [unrolled: 2-line block ×4, first 2 shown]
	.long	640541709                       ; 0x262de40d
	.long	421086624                       ; 0x191945a0
	.long	4233576392                      ; 0xfc573fc8
	.long	3385587450                      ; 0xc9cbf6fa
	.long	2655936801                      ; 0x9e4e6121
	.long	773140636                       ; 0x2e15309c
	.long	2158026018                      ; 0x80a0dd22
	.long	1756785611                      ; 0x68b66bcb
	;; [unrolled: 1-line block ×3, first 2 shown]
	.long	587202971                       ; 0x2300019b
	.long	736117181                       ; 0x2be041bd
	.long	2456162322                      ; 0x92661012
	.long	1168189787                      ; 0x45a1295b
	.long	911455077                       ; 0x3653b365
	.long	2517883370                      ; 0x9613d9ea
	.long	268231205                       ; 0xffce225
	.long	541474497                       ; 0x20463ec1
	.long	3316168972                      ; 0xc5a8b90c
	.long	1500275507                      ; 0x596c6333
	;; [unrolled: 1-line block ×3, first 2 shown]
	.long	725960194                       ; 0x2b454602
	.long	2044207227                      ; 0x79d8207b
	.long	3188997938                      ; 0xbe143f32
	;; [unrolled: 1-line block ×7, first 2 shown]
	.long	87868216                        ; 0x53cc338
	.long	2163964019                      ; 0x80fb7873
	.long	598195098                       ; 0x23a7bb9a
	.long	2139882719                      ; 0x7f8c04df
	.long	2062405428                      ; 0x7aedcf34
	.long	517907301                       ; 0x1edea365
	.long	2788202059                      ; 0xa630964b
	.long	223311969                       ; 0xd4f7861
	.long	2622859522                      ; 0x9c55a902
	.long	3888492701                      ; 0xe7c5b09d
	;; [unrolled: 1-line block ×3, first 2 shown]
	.long	740986174                       ; 0x2c2a8d3e
	.long	3563756446                      ; 0xd46a9b9e
	.long	2886083960                      ; 0xac062578
	;; [unrolled: 1-line block ×5, first 2 shown]
	.long	625828138                       ; 0x254d612a
	.long	2991888140                      ; 0xb254970c
	.long	1935326370                      ; 0x735abca2
	;; [unrolled: 1-line block ×9, first 2 shown]
	.long	185662179                       ; 0xb10fae3
	.long	536505093                       ; 0x1ffa6b05
	.long	3747894147                      ; 0xdf645383
	.long	1711714600                      ; 0x6606b128
	;; [unrolled: 1-line block ×4, first 2 shown]
	.long	91444490                        ; 0x573550a
	.long	628576944                       ; 0x257752b0
	.long	3370678255                      ; 0xc8e877ef
	.long	2408189350                      ; 0x8f8a0da6
	;; [unrolled: 1-line block ×8, first 2 shown]
	.long	953365104                       ; 0x38d33270
	.long	3104638527                      ; 0xb90d063f
	.long	3659647225                      ; 0xda21c8f9
	.long	631497759                       ; 0x25a3e41f
	.long	2000630022                      ; 0x773f3106
	.long	1921384447                      ; 0x7285ffff
	;; [unrolled: 3-line block ×3, first 2 shown]
	.long	3293926122                      ; 0xc45552ea
	.long	483396548                       ; 0x1cd00bc4
	.long	3848838894                      ; 0xe5689eee
	.long	3131266478                      ; 0xbaa355ae
	;; [unrolled: 1-line block ×3, first 2 shown]
	.long	146876953                       ; 0x8c12a19
	.long	3279827269                      ; 0xc37e3145
	.long	2644461735                      ; 0x9d9f48a7
	;; [unrolled: 1-line block ×11, first 2 shown]
	.long	716404149                       ; 0x2ab375b5
	.long	3392113666                      ; 0xca2f8c02
	.long	3102243824                      ; 0xb8e87bf0
	;; [unrolled: 1-line block ×3, first 2 shown]
	.long	651997355                       ; 0x26dcb0ab
	.long	282914223                       ; 0x10dcedaf
	.long	2085613514                      ; 0x7c4fefca
	.long	3767702588                      ; 0xe092943c
	;; [unrolled: 1-line block ×4, first 2 shown]
	.long	978904005                       ; 0x3a58e3c5
	.long	503506384                       ; 0x1e02e5d0
	.long	1951622548                      ; 0x74536594
	.long	300654823                       ; 0x11eba0e7
	.long	2565125471                      ; 0x98e4b55f
	.long	2782642813                      ; 0xa5dbc27d
	;; [unrolled: 1-line block ×5, first 2 shown]
	.long	3491609                         ; 0x354719
	.long	1319592872                      ; 0x4ea763a8
	.long	452433679                       ; 0x1af7970f
	.long	1075424534                      ; 0x4019ad16
	.long	1437913158                      ; 0x55b4d046
	;; [unrolled: 1-line block ×5, first 2 shown]
	.long	207992406                       ; 0xc65b656
	.long	2153172585                      ; 0x8056ce69
	.long	2664450619                      ; 0x9ed04a3b
	.long	691091062                       ; 0x29313676
	.long	3553502652                      ; 0xd3ce25bc
	.long	3114255216                      ; 0xb99fc370
	.long	17137237                        ; 0x1057e55
	.long	2197910648                      ; 0x83017478
	.long	2310382370                      ; 0x89b5a322
	;; [unrolled: 1-line block ×4, first 2 shown]
	.long	802137134                       ; 0x2fcfa42e
	.long	2272766890                      ; 0x8777abaa
	.long	31122394                        ; 0x1dae3da
	.long	468580641                       ; 0x1bedf921
	.long	4069482373                      ; 0xf28f5f85
	.long	3909775167                      ; 0xe90a6f3f
	;; [unrolled: 1-line block ×7, first 2 shown]
	.long	672057044                       ; 0x280ec6d4
	.long	2108452841                      ; 0x7dac6fe9
	.long	1755577669                      ; 0x68a3fd45
	.long	12831353                        ; 0xc3ca79
	.long	1878151473                      ; 0x6ff25131
	.long	805157552                       ; 0x2ffdbab0
	.long	1271858417                      ; 0x4bcf04f1
	.long	2623540912                      ; 0x9c600eb0
	.long	461887094                       ; 0x1b87d676
	.long	3215921223                      ; 0xbfaf1047
	.long	751773221                       ; 0x2ccf2625
	.long	1517221627                      ; 0x5a6ef6fb
	.long	3922191946                      ; 0xe9c7e64a
	;; [unrolled: 1-line block ×3, first 2 shown]
	.long	361845001                       ; 0x15915109
	.long	640541709                       ; 0x262de40d
	;; [unrolled: 1-line block ×3, first 2 shown]
	.long	2173849516                      ; 0x81924fac
	.long	3385587450                      ; 0xc9cbf6fa
	;; [unrolled: 1-line block ×3, first 2 shown]
	.long	773140636                       ; 0x2e15309c
	.long	2158026018                      ; 0x80a0dd22
	.long	1085377158                      ; 0x40b18a86
	;; [unrolled: 1-line block ×3, first 2 shown]
	.long	587202971                       ; 0x2300019b
	.long	736117181                       ; 0x2be041bd
	.long	2456162322                      ; 0x92661012
	.long	2158960374                      ; 0x80af1ef6
	.long	911455077                       ; 0x3653b365
	.long	2517883370                      ; 0x9613d9ea
	.long	268231205                       ; 0xffce225
	.long	541474497                       ; 0x20463ec1
	;; [unrolled: 1-line block ×3, first 2 shown]
	.long	1500275507                      ; 0x596c6333
	.long	2037251305                      ; 0x796dfce9
	.long	725960194                       ; 0x2b454602
	.long	2044207227                      ; 0x79d8207b
	.long	2481150802                      ; 0x93e35b52
	;; [unrolled: 1-line block ×7, first 2 shown]
	.long	87868216                        ; 0x53cc338
	.long	2163964019                      ; 0x80fb7873
	.long	598195098                       ; 0x23a7bb9a
	.long	2139882719                      ; 0x7f8c04df
	.long	2007840238                      ; 0x77ad35ee
	.long	517907301                       ; 0x1edea365
	.long	2788202059                      ; 0xa630964b
	.long	223311969                       ; 0xd4f7861
	;; [unrolled: 2-line block ×4, first 2 shown]
	.long	3563756446                      ; 0xd46a9b9e
	.long	2886083960                      ; 0xac062578
	;; [unrolled: 1-line block ×5, first 2 shown]
	.long	625828138                       ; 0x254d612a
	.long	2991888140                      ; 0xb254970c
	.long	2652286195                      ; 0x9e16acf3
	;; [unrolled: 1-line block ×6, first 2 shown]
	.long	289801789                       ; 0x1146063d
	.long	3509674153                      ; 0xd13160a9
	.long	3977153945                      ; 0xed0e8d99
	.long	185662179                       ; 0xb10fae3
	.long	536505093                       ; 0x1ffa6b05
	.long	2727322952                      ; 0xa28fa548
	.long	3980498348                      ; 0xed4195ac
	;; [unrolled: 1-line block ×6, first 2 shown]
	.long	533384122                       ; 0x1fcacbba
	.long	277613480                       ; 0x108c0ba8
	.long	1815540358                      ; 0x6c36f286
	.long	282763841                       ; 0x10daa241
	.long	3669112623                      ; 0xdab2372f
	.long	2572859425                      ; 0x995ab821
	.long	195220178                       ; 0xba2d2d2
	.long	1210883545                      ; 0x482c9dd9
	.long	2359703600                      ; 0x8ca63830
	;; [unrolled: 1-line block ×3, first 2 shown]
	.long	675732974                       ; 0x2846ddee
	.long	325036095                       ; 0x135fa83f
	;; [unrolled: 1-line block ×3, first 2 shown]
	.long	2556854604                      ; 0x9866814c
	.long	701006284                       ; 0x29c881cc
	.long	2378459191                      ; 0x8dc46837
	.long	1863513103                      ; 0x6f12f40f
	;; [unrolled: 1-line block ×6, first 2 shown]
	.long	521809106                       ; 0x1f1a2cd2
	.long	974368613                       ; 0x3a13af65
	.long	3136010957                      ; 0xbaebbacd
	.long	2722488678                      ; 0xa245e166
	;; [unrolled: 1-line block ×7, first 2 shown]
	.long	515543502                       ; 0x1eba91ce
	.long	1314129776                      ; 0x4e540770
	.long	3235373306                      ; 0xc0d7e0fa
	;; [unrolled: 1-line block ×4, first 2 shown]
	.long	559099351                       ; 0x21532dd7
	.long	186876368                       ; 0xb2381d0
	.long	1076102111                      ; 0x402403df
	.long	1218809551                      ; 0x48a58ecf
	;; [unrolled: 1-line block ×4, first 2 shown]
	.long	768125358                       ; 0x2dc8a9ae
	.long	1132864749                      ; 0x438624ed
	.long	4262563773                      ; 0xfe118fbd
	;; [unrolled: 1-line block ×7, first 2 shown]
	.long	724326159                       ; 0x2b2c570f
	.long	4134105682                      ; 0xf6697252
	.long	4188752746                      ; 0xf9ab4b6a
	;; [unrolled: 1-line block ×7, first 2 shown]
	.long	777862587                       ; 0x2e5d3dbb
	.long	39962002                        ; 0x261c592
	.long	3772005832                      ; 0xe0d43dc8
	.long	997473319                       ; 0x3b743c27
	.long	574843584                       ; 0x22436ac0
	.long	3356551974                      ; 0xc810eb26
	.long	1265234427                      ; 0x4b69f1fb
	;; [unrolled: 1-line block ×3, first 2 shown]
	.long	534747571                       ; 0x1fdf99b3
	.long	1465532164                      ; 0x575a3f04
	.long	3263029035                      ; 0xc27ddf2b
	.long	534512444                       ; 0x1fdc033c
	.long	2343092827                      ; 0x8ba8c25b
	.long	2375685652                      ; 0x8d9a1614
	;; [unrolled: 1-line block ×5, first 2 shown]
	.long	261114084                       ; 0xf9048e4
	.long	172755755                       ; 0xa4c0b2b
	.long	2737085495                      ; 0xa3249c37
	.long	2225257145                      ; 0x84a2bab9
	.long	148605658                       ; 0x8db8ada
	.long	1353911796                      ; 0x50b30df4
	.long	357753009                       ; 0x1552e0b1
	;; [unrolled: 2-line block ×3, first 2 shown]
	.long	4136467976                      ; 0xf68d7e08
	.long	2837964962                      ; 0xa927e8a2
	;; [unrolled: 1-line block ×8, first 2 shown]
	.long	915444966                       ; 0x369094e6
	.long	2299938515                      ; 0x891646d3
	.long	3351580749                      ; 0xc7c5104d
	.long	506575598                       ; 0x1e31baee
	.long	1541916825                      ; 0x5be7c899
	.long	3465300401                      ; 0xce8c49b1
	.long	525927458                       ; 0x1f590422
	.long	681152801                       ; 0x28999121
	.long	331660975                       ; 0x13c4beaf
	.long	3624685846                      ; 0xd80c5116
	.long	2994172100                      ; 0xb27770c4
	;; [unrolled: 1-line block ×4, first 2 shown]
	.long	815689760                       ; 0x309e7020
	.long	1710961092                      ; 0x65fb31c4
	.long	2775607076                      ; 0xa5706724
	;; [unrolled: 1-line block ×6, first 2 shown]
	.long	2736754                         ; 0x29c272
	.long	1646031035                      ; 0x621c70bb
	.long	2448701214                      ; 0x91f4371e
	;; [unrolled: 1-line block ×5, first 2 shown]
	.long	300773646                       ; 0x11ed710e
	.long	3125160783                      ; 0xba462b4f
	.long	1247453205                      ; 0x4a5aa015
	;; [unrolled: 1-line block ×4, first 2 shown]
	.long	904135764                       ; 0x35e40454
	.long	876847374                       ; 0x3443a10e
	;; [unrolled: 1-line block ×3, first 2 shown]
	.long	2541269205                      ; 0x9778b0d5
	.long	131376648                       ; 0x7d4a608
	.long	1805948133                      ; 0x6ba494e5
	.long	3383589530                      ; 0xc9ad7a9a
	;; [unrolled: 1-line block ×13, first 2 shown]
	.long	902282791                       ; 0x35c7be27
	.long	1143943232                      ; 0x442f3040
	.long	3568431811                      ; 0xd4b1f2c3
	;; [unrolled: 1-line block ×3, first 2 shown]
	.long	193362198                       ; 0xb867916
	.long	2509297125                      ; 0x9590d5e5
	.long	3968551582                      ; 0xec8b4a9e
	.long	2175686117                      ; 0x81ae55e5
	.long	3568936881                      ; 0xd4b9a7b1
	.long	1853177468                      ; 0x6e753e7c
	.long	2134063169                      ; 0x7f333841
	.long	2919389416                      ; 0xae0258e8
	.long	1124914545                      ; 0x430cd571
	.long	1209806738                      ; 0x481c2f92
	.long	1199972651                      ; 0x4786212b
	.long	1035834631                      ; 0x3dbd9507
	.long	3177798370                      ; 0xbd695ae2
	.long	860834162                       ; 0x334f4972
	.long	3741677748                      ; 0xdf0578b4
	.long	3780327829                      ; 0xe1533995
	;; [unrolled: 1-line block ×4, first 2 shown]
	.long	559568669                       ; 0x215a571d
	.long	2758650294                      ; 0xa46da9b6
	.long	647308222                       ; 0x269523be
	.long	3901603996                      ; 0xe88dc09c
	.long	1778653821                      ; 0x6a041a7d
	;; [unrolled: 1-line block ×8, first 2 shown]
	.long	91368462                        ; 0x5722c0e
	.long	1883994950                      ; 0x704b7b46
	.long	1506873376                      ; 0x59d11020
	;; [unrolled: 1-line block ×7, first 2 shown]
	.long	427845396                       ; 0x19806714
	.long	2714836263                      ; 0xa1d11d27
	.long	1259019491                      ; 0x4b0b1ce3
	;; [unrolled: 1-line block ×6, first 2 shown]
	.long	176883719                       ; 0xa8b0807
	.long	2031844862                      ; 0x791b7dfe
	.long	1272380790                      ; 0x4bd6fd76
	;; [unrolled: 1-line block ×5, first 2 shown]
	.long	311436877                       ; 0x1290264d
	.long	3627785554                      ; 0xd83b9d52
	.long	1889491722                      ; 0x709f5b0a
	.long	2938069193                      ; 0xaf1f60c9
	.long	2771940687                      ; 0xa538754f
	.long	2756955968                      ; 0xa453cf40
	.long	4289348777                      ; 0xffaa44a9
	.long	263514583                       ; 0xfb4e9d7
	.long	887207028                       ; 0x34e1b474
	.long	3522902525                      ; 0xd1fb39fd
	.long	2273246349                      ; 0x877efc8d
	.long	835377715                       ; 0x31cada33
	.long	2897243319                      ; 0xacb06cb7
	.long	204645450                       ; 0xc32a44a
	;; [unrolled: 2-line block ×3, first 2 shown]
	.long	2856296318                      ; 0xaa3f9f7e
	.long	3032942383                      ; 0xb4c7072f
	;; [unrolled: 1-line block ×4, first 2 shown]
	.long	202834023                       ; 0xc170067
	.long	1876303820                      ; 0x6fd61fcc
	.long	1434703409                      ; 0x5583d631
	;; [unrolled: 1-line block ×3, first 2 shown]
	.long	848853780                       ; 0x32987b14
	.long	4188621628                      ; 0xf9a94b3c
	.long	928095314                       ; 0x37519c52
	.long	876412914                       ; 0x343cfff2
	.long	3446576392                      ; 0xcd6e9508
	.long	3235688990                      ; 0xc0dcb21e
	;; [unrolled: 1-line block ×5, first 2 shown]
	.long	399997246                       ; 0x17d7793e
	.long	1642535200                      ; 0x61e71920
	.long	3872575068                      ; 0xe6d2ce5c
	;; [unrolled: 1-line block ×4, first 2 shown]
	.long	609914462                       ; 0x245a8e5e
	.long	653194726                       ; 0x26eef5e6
	.long	4048067248                      ; 0xf1489ab0
	.long	2500767965                      ; 0x950eb0dd
	;; [unrolled: 1-line block ×7, first 2 shown]
	.long	328215079                       ; 0x13902a27
	.long	1695889194                      ; 0x6515372a
	.long	2040280471                      ; 0x799c3597
	.long	3384684457                      ; 0xc9be2fa9
	.long	2540504961                      ; 0x976d0781
	.long	293050253                       ; 0x1177978d
	.long	525570078                       ; 0x1f53901e
	.long	2655676443                      ; 0x9e4a681b
	.long	1392199429                      ; 0x52fb4705
	;; [unrolled: 1-line block ×5, first 2 shown]
	.long	247937142                       ; 0xec73876
	.long	2534538765                      ; 0x9711fe0d
	.long	365841057                       ; 0x15ce4aa1
	.long	2449431033                      ; 0x91ff59f9
	.long	2456532429                      ; 0x926bb5cd
	.long	101910696                       ; 0x61308a8
	.long	1247069485                      ; 0x4a54c52d
	.long	1523958293                      ; 0x5ad5c215
	;; [unrolled: 1-line block ×3, first 2 shown]
	.long	473709728                       ; 0x1c3c3ca0
	.long	3026667113                      ; 0xb4674669
	.long	2071968844                      ; 0x7b7fbc4c
	.long	324025193                       ; 0x13503b69
	.long	423064436                       ; 0x19377374
	.long	3870800061                      ; 0xe6b7b8bd
	.long	3977393138                      ; 0xed1233f2
	;; [unrolled: 1-line block ×3, first 2 shown]
	.long	352757977                       ; 0x1506a8d9
	.long	1584833348                      ; 0x5e76a344
	.long	3173248650                      ; 0xbd23ee8a
	;; [unrolled: 1-line block ×5, first 2 shown]
	.long	617281070                       ; 0x24caf62e
	.long	1958012761                      ; 0x74b4e759
	.long	4031667102                      ; 0xf04e5b9e
	;; [unrolled: 1-line block ×11, first 2 shown]
	.long	24973500                        ; 0x17d10bc
	.long	1705444176                      ; 0x65a70350
	.long	713642505                       ; 0x2a895209
	.long	3017719513                      ; 0xb3debed9
	.long	2090715200                      ; 0x7c9dc840
	;; [unrolled: 1-line block ×3, first 2 shown]
	.long	37117223                        ; 0x2365d27
	.long	1948295454                      ; 0x7420a11e
	.long	3055840561                      ; 0xb6246d31
	;; [unrolled: 1-line block ×4, first 2 shown]
	.long	527899063                       ; 0x1f7719b7
	.long	4285770666                      ; 0xff73abaa
	.long	1075524023                      ; 0x401b31b7
	;; [unrolled: 1-line block ×3, first 2 shown]
	.long	392943522                       ; 0x176bd7a2
	.long	171012646                       ; 0xa317226
	.long	3515750082                      ; 0xd18e16c2
	.long	3414659054                      ; 0xcb878fee
	;; [unrolled: 1-line block ×6, first 2 shown]
	.long	90134967                        ; 0x55f59b7
	.long	363058647                       ; 0x15a3d5d7
	.long	3289266998                      ; 0xc40e3b36
	.long	2470752727                      ; 0x9344b1d7
	;; [unrolled: 1-line block ×5, first 2 shown]
	.long	860834162                       ; 0x334f4972
	.long	1791097822                      ; 0x6ac1fbde
	.long	3780327829                      ; 0xe1533995
	;; [unrolled: 1-line block ×4, first 2 shown]
	.long	559568669                       ; 0x215a571d
	.long	3503319486                      ; 0xd0d069be
	.long	647308222                       ; 0x269523be
	.long	3901603996                      ; 0xe88dc09c
	.long	1778653821                      ; 0x6a041a7d
	;; [unrolled: 1-line block ×8, first 2 shown]
	.long	212518363                       ; 0xcaac5db
	.long	1883994950                      ; 0x704b7b46
	.long	1506873376                      ; 0x59d11020
	;; [unrolled: 1-line block ×7, first 2 shown]
	.long	427845396                       ; 0x19806714
	.long	2714836263                      ; 0xa1d11d27
	.long	2744363872                      ; 0xa393ab60
	;; [unrolled: 1-line block ×12, first 2 shown]
	.long	311436877                       ; 0x1290264d
	.long	3627785554                      ; 0xd83b9d52
	.long	1889491722                      ; 0x709f5b0a
	;; [unrolled: 1-line block ×6, first 2 shown]
	.long	263514583                       ; 0xfb4e9d7
	.long	887207028                       ; 0x34e1b474
	.long	2097276163                      ; 0x7d01e503
	.long	2273246349                      ; 0x877efc8d
	.long	835377715                       ; 0x31cada33
	.long	2897243319                      ; 0xacb06cb7
	.long	204645450                       ; 0xc32a44a
	;; [unrolled: 2-line block ×3, first 2 shown]
	.long	2856296318                      ; 0xaa3f9f7e
	.long	3032942383                      ; 0xb4c7072f
	;; [unrolled: 1-line block ×3, first 2 shown]
	.long	28260330                        ; 0x1af37ea
	.long	202834023                       ; 0xc170067
	.long	1876303820                      ; 0x6fd61fcc
	.long	1434703409                      ; 0x5583d631
	;; [unrolled: 1-line block ×5, first 2 shown]
	.long	928095314                       ; 0x37519c52
	.long	876412914                       ; 0x343cfff2
	.long	3446576392                      ; 0xcd6e9508
	.long	117581687                       ; 0x7022777
	.long	4021419931                      ; 0xefb1ff9b
	.long	2483628986                      ; 0x94092bba
	;; [unrolled: 1-line block ×3, first 2 shown]
	.long	399997246                       ; 0x17d7793e
	.long	4254101087                      ; 0xfd906e5f
	.long	3872575068                      ; 0xe6d2ce5c
	.long	1577956550                      ; 0x5e0db4c6
	.long	3606228634                      ; 0xd6f2ae9a
	.long	609914462                       ; 0x245a8e5e
	.long	4003279048                      ; 0xee9d30c8
	.long	4048067248                      ; 0xf1489ab0
	;; [unrolled: 1-line block ×5, first 2 shown]
	.long	922020515                       ; 0x36f4eaa3
	.long	1875618971                      ; 0x6fcbac9b
	.long	3865851141                      ; 0xe66c3505
	.long	328215079                       ; 0x13902a27
	.long	1695889194                      ; 0x6515372a
	.long	625773097                       ; 0x254c8a29
	.long	3384684457                      ; 0xc9be2fa9
	.long	2540504961                      ; 0x976d0781
	.long	293050253                       ; 0x1177978d
	.long	525570078                       ; 0x1f53901e
	.long	2592805114                      ; 0x9a8b10fa
	.long	1392199429                      ; 0x52fb4705
	;; [unrolled: 1-line block ×7, first 2 shown]
	.long	365841057                       ; 0x15ce4aa1
	.long	2449431033                      ; 0x91ff59f9
	.long	2456532429                      ; 0x926bb5cd
	;; [unrolled: 1-line block ×6, first 2 shown]
	.long	473709728                       ; 0x1c3c3ca0
	.long	720895889                       ; 0x2af7ff91
	.long	2071968844                      ; 0x7b7fbc4c
	.long	324025193                       ; 0x13503b69
	.long	423064436                       ; 0x19377374
	.long	3870800061                      ; 0xe6b7b8bd
	.long	3535536111                      ; 0xd2bbffef
	;; [unrolled: 1-line block ×3, first 2 shown]
	.long	352757977                       ; 0x1506a8d9
	.long	1584833348                      ; 0x5e76a344
	.long	3173248650                      ; 0xbd23ee8a
	;; [unrolled: 1-line block ×5, first 2 shown]
	.long	617281070                       ; 0x24caf62e
	.long	1958012761                      ; 0x74b4e759
	.long	778965559                       ; 0x2e6e1237
	.long	3232142321                      ; 0xc0a693f1
	.long	3087428595                      ; 0xb8066bf3
	;; [unrolled: 1-line block ×9, first 2 shown]
	.long	702936770                       ; 0x29e5f6c2
	.long	1705444176                      ; 0x65a70350
	.long	713642505                       ; 0x2a895209
	.long	3017719513                      ; 0xb3debed9
	.long	2090715200                      ; 0x7c9dc840
	;; [unrolled: 1-line block ×3, first 2 shown]
	.long	37117223                        ; 0x2365d27
	.long	1948295454                      ; 0x7420a11e
	.long	3055840561                      ; 0xb6246d31
	;; [unrolled: 1-line block ×3, first 2 shown]
	.long	464173532                       ; 0x1baab9dc
	.long	527899063                       ; 0x1f7719b7
	.long	4285770666                      ; 0xff73abaa
	.long	1075524023                      ; 0x401b31b7
	;; [unrolled: 1-line block ×4, first 2 shown]
	.long	171012646                       ; 0xa317226
	.long	3515750082                      ; 0xd18e16c2
	.long	3414659054                      ; 0xcb878fee
	;; [unrolled: 1-line block ×6, first 2 shown]
	.long	90134967                        ; 0x55f59b7
	.long	363058647                       ; 0x15a3d5d7
	.long	4112991722                      ; 0xf52745ea
	.long	2470752727                      ; 0x9344b1d7
	;; [unrolled: 1-line block ×10, first 2 shown]
	.long	153020604                       ; 0x91ee8bc
	.long	3503319486                      ; 0xd0d069be
	.long	647308222                       ; 0x269523be
	.long	3901603996                      ; 0xe88dc09c
	.long	1778653821                      ; 0x6a041a7d
	.long	221887019                       ; 0xd39ba2b
	.long	4294594427                      ; 0xfffa4f7b
	.long	4261179460                      ; 0xfdfc7044
	;; [unrolled: 1-line block ×5, first 2 shown]
	.long	212518363                       ; 0xcaac5db
	.long	1883994950                      ; 0x704b7b46
	.long	1506873376                      ; 0x59d11020
	.long	1527780962                      ; 0x5b101662
	.long	430180116                       ; 0x19a40714
	.long	2398655600                      ; 0x8ef89470
	.long	2389066602                      ; 0x8e66436a
	.long	1574939945                      ; 0x5ddfad29
	;; [unrolled: 4-line block ×3, first 2 shown]
	.long	2584034689                      ; 0x9a053d81
	.long	3151382431                      ; 0xbbd6479f
	.long	752704472                       ; 0x2cdd5bd8
	.long	2787053497                      ; 0xa61f0fb9
	.long	2031844862                      ; 0x791b7dfe
	;; [unrolled: 1-line block ×6, first 2 shown]
	.long	311436877                       ; 0x1290264d
	.long	3627785554                      ; 0xd83b9d52
	.long	1889491722                      ; 0x709f5b0a
	;; [unrolled: 1-line block ×6, first 2 shown]
	.long	263514583                       ; 0xfb4e9d7
	.long	3778019638                      ; 0xe1300136
	.long	2097276163                      ; 0x7d01e503
	.long	2273246349                      ; 0x877efc8d
	.long	835377715                       ; 0x31cada33
	.long	2897243319                      ; 0xacb06cb7
	.long	1060067446                      ; 0x3f2f5876
	.long	4233399907                      ; 0xfc548e63
	;; [unrolled: 4-line block ×3, first 2 shown]
	.long	28260330                        ; 0x1af37ea
	.long	202834023                       ; 0xc170067
	.long	1876303820                      ; 0x6fd61fcc
	.long	1434703409                      ; 0x5583d631
	;; [unrolled: 1-line block ×5, first 2 shown]
	.long	928095314                       ; 0x37519c52
	.long	876412914                       ; 0x343cfff2
	.long	3785385583                      ; 0xe1a0666f
	.long	117581687                       ; 0x7022777
	.long	4021419931                      ; 0xefb1ff9b
	.long	2483628986                      ; 0x94092bba
	;; [unrolled: 1-line block ×13, first 2 shown]
	.long	928465955                       ; 0x37574423
	.long	922020515                       ; 0x36f4eaa3
	.long	1875618971                      ; 0x6fcbac9b
	.long	3865851141                      ; 0xe66c3505
	.long	328215079                       ; 0x13902a27
	.long	173810260                       ; 0xa5c2254
	;; [unrolled: 1-line block ×3, first 2 shown]
	.long	3384684457                      ; 0xc9be2fa9
	.long	2540504961                      ; 0x976d0781
	.long	293050253                       ; 0x1177978d
	.long	2645143254                      ; 0x9da9aed6
	.long	2592805114                      ; 0x9a8b10fa
	;; [unrolled: 1-line block ×5, first 2 shown]
	.long	162781360                       ; 0x9b3d8b0
	.long	3190958614                      ; 0xbe322a16
	.long	2534538765                      ; 0x9711fe0d
	.long	365841057                       ; 0x15ce4aa1
	.long	2449431033                      ; 0x91ff59f9
	.long	3105377832                      ; 0xb9184e28
	;; [unrolled: 1-line block ×6, first 2 shown]
	.long	800971948                       ; 0x2fbddcac
	.long	720895889                       ; 0x2af7ff91
	.long	2071968844                      ; 0x7b7fbc4c
	.long	324025193                       ; 0x13503b69
	.long	423064436                       ; 0x19377374
	.long	52577992                        ; 0x32246c8
	.long	3535536111                      ; 0xd2bbffef
	.long	3632553233                      ; 0xd8845d11
	.long	352757977                       ; 0x1506a8d9
	.long	1584833348                      ; 0x5e76a344
	.long	3305908059                      ; 0xc50c275b
	;; [unrolled: 1-line block ×5, first 2 shown]
	.long	617281070                       ; 0x24caf62e
	.long	264880505                       ; 0xfc9c179
	;; [unrolled: 1-line block ×3, first 2 shown]
	.long	3232142321                      ; 0xc0a693f1
	.long	3087428595                      ; 0xb8066bf3
	;; [unrolled: 1-line block ×9, first 2 shown]
	.long	702936770                       ; 0x29e5f6c2
	.long	1705444176                      ; 0x65a70350
	.long	713642505                       ; 0x2a895209
	.long	3017719513                      ; 0xb3debed9
	;; [unrolled: 2-line block ×3, first 2 shown]
	.long	37117223                        ; 0x2365d27
	.long	1948295454                      ; 0x7420a11e
	.long	3055840561                      ; 0xb6246d31
	;; [unrolled: 1-line block ×3, first 2 shown]
	.long	464173532                       ; 0x1baab9dc
	.long	527899063                       ; 0x1f7719b7
	.long	4285770666                      ; 0xff73abaa
	.long	1075524023                      ; 0x401b31b7
	;; [unrolled: 1-line block ×4, first 2 shown]
	.long	171012646                       ; 0xa317226
	.long	3515750082                      ; 0xd18e16c2
	.long	3414659054                      ; 0xcb878fee
	.long	818571456                       ; 0x30ca68c0
	.long	1631555059                      ; 0x613f8df3
	.long	2662104279                      ; 0x9eac7cd7
	;; [unrolled: 1-line block ×3, first 2 shown]
	.long	90134967                        ; 0x55f59b7
	.long	952712086                       ; 0x38c93b96
	.long	4112991722                      ; 0xf52745ea
	.long	2470752727                      ; 0x9344b1d7
	;; [unrolled: 1-line block ×4, first 2 shown]
	.long	888975816                       ; 0x34fcb1c8
	.long	4152098951                      ; 0xf77c0087
	.long	1791097822                      ; 0x6ac1fbde
	;; [unrolled: 1-line block ×5, first 2 shown]
	.long	153020604                       ; 0x91ee8bc
	.long	3503319486                      ; 0xd0d069be
	.long	647308222                       ; 0x269523be
	.long	3901603996                      ; 0xe88dc09c
	.long	3753248472                      ; 0xdfb606d8
	.long	221887019                       ; 0xd39ba2b
	.long	4294594427                      ; 0xfffa4f7b
	.long	4261179460                      ; 0xfdfc7044
	;; [unrolled: 1-line block ×5, first 2 shown]
	.long	212518363                       ; 0xcaac5db
	.long	1883994950                      ; 0x704b7b46
	.long	1506873376                      ; 0x59d11020
	;; [unrolled: 1-line block ×3, first 2 shown]
	.long	430180116                       ; 0x19a40714
	.long	2398655600                      ; 0x8ef89470
	.long	2389066602                      ; 0x8e66436a
	;; [unrolled: 1-line block ×9, first 2 shown]
	.long	752704472                       ; 0x2cdd5bd8
	.long	2787053497                      ; 0xa61f0fb9
	.long	2031844862                      ; 0x791b7dfe
	;; [unrolled: 1-line block ×6, first 2 shown]
	.long	311436877                       ; 0x1290264d
	.long	3627785554                      ; 0xd83b9d52
	.long	3410473245                      ; 0xcb47b11d
	;; [unrolled: 1-line block ×10, first 2 shown]
	.long	835377715                       ; 0x31cada33
	.long	3127280755                      ; 0xba668473
	.long	1060067446                      ; 0x3f2f5876
	;; [unrolled: 1-line block ×3, first 2 shown]
	.long	639470242                       ; 0x261d8aa2
	.long	2856296318                      ; 0xaa3f9f7e
	.long	2615775011                      ; 0x9be98f23
	;; [unrolled: 1-line block ×3, first 2 shown]
	.long	28260330                        ; 0x1af37ea
	.long	202834023                       ; 0xc170067
	.long	1876303820                      ; 0x6fd61fcc
	.long	619308202                       ; 0x24e9e4aa
	.long	3094305336                      ; 0xb86f5a38
	.long	2455670466                      ; 0x925e8ec2
	;; [unrolled: 1-line block ×3, first 2 shown]
	.long	928095314                       ; 0x37519c52
	.long	3764894047                      ; 0xe067b95f
	.long	3785385583                      ; 0xe1a0666f
	.long	117581687                       ; 0x7022777
	.long	4021419931                      ; 0xefb1ff9b
	.long	2483628986                      ; 0x94092bba
	;; [unrolled: 1-line block ×13, first 2 shown]
	.long	928465955                       ; 0x37574423
	.long	922020515                       ; 0x36f4eaa3
	.long	1875618971                      ; 0x6fcbac9b
	.long	3865851141                      ; 0xe66c3505
	;; [unrolled: 1-line block ×3, first 2 shown]
	.long	173810260                       ; 0xa5c2254
	.long	625773097                       ; 0x254c8a29
	.long	3384684457                      ; 0xc9be2fa9
	.long	2540504961                      ; 0x976d0781
	;; [unrolled: 1-line block ×8, first 2 shown]
	.long	162781360                       ; 0x9b3d8b0
	.long	3190958614                      ; 0xbe322a16
	.long	2534538765                      ; 0x9711fe0d
	.long	365841057                       ; 0x15ce4aa1
	.long	3843585067                      ; 0xe518742b
	.long	3105377832                      ; 0xb9184e28
	.long	3778669305                      ; 0xe139eaf9
	.long	1247069485                      ; 0x4a54c52d
	.long	1523958293                      ; 0x5ad5c215
	.long	293374051                       ; 0x117c8863
	.long	800971948                       ; 0x2fbddcac
	.long	720895889                       ; 0x2af7ff91
	.long	2071968844                      ; 0x7b7fbc4c
	.long	324025193                       ; 0x13503b69
	.long	3342361801                      ; 0xc73864c9
	.long	52577992                        ; 0x32246c8
	.long	3535536111                      ; 0xd2bbffef
	.long	3632553233                      ; 0xd8845d11
	.long	352757977                       ; 0x1506a8d9
	.long	1386594581                      ; 0x52a5c115
	.long	3305908059                      ; 0xc50c275b
	;; [unrolled: 1-line block ×6, first 2 shown]
	.long	264880505                       ; 0xfc9c179
	.long	778965559                       ; 0x2e6e1237
	.long	3232142321                      ; 0xc0a693f1
	.long	3087428595                      ; 0xb8066bf3
	;; [unrolled: 1-line block ×9, first 2 shown]
	.long	702936770                       ; 0x29e5f6c2
	.long	1705444176                      ; 0x65a70350
	.long	713642505                       ; 0x2a895209
	.long	1717761787                      ; 0x6662f6fb
	;; [unrolled: 2-line block ×3, first 2 shown]
	.long	37117223                        ; 0x2365d27
	.long	1948295454                      ; 0x7420a11e
	.long	896215772                       ; 0x356b2adc
	.long	1588372042                      ; 0x5eaca24a
	.long	464173532                       ; 0x1baab9dc
	.long	527899063                       ; 0x1f7719b7
	.long	4285770666                      ; 0xff73abaa
	.long	3441409029                      ; 0xcd1fbc05
	;; [unrolled: 1-line block ×4, first 2 shown]
	.long	171012646                       ; 0xa317226
	.long	3515750082                      ; 0xd18e16c2
	.long	2216687886                      ; 0x841ff90e
	.long	818571456                       ; 0x30ca68c0
	.long	1631555059                      ; 0x613f8df3
	.long	2662104279                      ; 0x9eac7cd7
	;; [unrolled: 1-line block ×3, first 2 shown]
	.long	369438400                       ; 0x16052ec0
	.long	329003658                       ; 0x139c328a
	.long	1503365029                      ; 0x599b87a5
	.long	4215790910                      ; 0xfb47dd3e
	.long	3264377550                      ; 0xc29272ce
	.long	733526983                       ; 0x2bb8bbc7
	.long	2935318632                      ; 0xaef56868
	.long	1792331479                      ; 0x6ad4ced7
	.long	608347530                       ; 0x2442a58a
	.long	392723097                       ; 0x17687a99
	.long	1330445854                      ; 0x4f4cfe1e
	.long	3473004271                      ; 0xcf01d6ef
	;; [unrolled: 1-line block ×6, first 2 shown]
	.long	409769584                       ; 0x186c9670
	.long	2943326880                      ; 0xaf6f9aa0
	.long	3746302819                      ; 0xdf4c0b63
	;; [unrolled: 1-line block ×5, first 2 shown]
	.long	832105292                       ; 0x3198eb4c
	.long	2119405275                      ; 0x7e538edb
	.long	538318455                       ; 0x20161677
	.long	2981192295                      ; 0xb1b16267
	.long	861775416                       ; 0x335da638
	.long	609718403                       ; 0x24579083
	.long	3531204230                      ; 0xd279e686
	.long	1904759571                      ; 0x71885313
	.long	1262633751                      ; 0x4b424317
	.long	2375133081                      ; 0x8d91a799
	.long	460454984                       ; 0x1b71fc48
	.long	946700253                       ; 0x386d7fdd
	.long	3763898311                      ; 0xe05887c7
	.long	1571175213                      ; 0x5da63b2d
	;; [unrolled: 1-line block ×9, first 2 shown]
	.long	772727786                       ; 0x2e0ee3ea
	.long	247203117                       ; 0xebc052d
	;; [unrolled: 1-line block ×4, first 2 shown]
	.long	2027348597                      ; 0x78d6e275
	.long	764933887                       ; 0x2d97f6ff
	.long	3812479771                      ; 0xe33dd31b
	.long	1825807084                      ; 0x6cd39aec
	;; [unrolled: 1-line block ×7, first 2 shown]
	.long	423506843                       ; 0x193e339b
	.long	3070938758                      ; 0xb70ace86
	.long	653091413                       ; 0x26ed6255
	.long	2267423132                      ; 0x8726219c
	.long	2004263526                      ; 0x7776a266
	;; [unrolled: 1-line block ×4, first 2 shown]
	.long	841138314                       ; 0x3222c08a
	.long	1260317857                      ; 0x4b1eeca1
	.long	3887432433                      ; 0xe7b582f1
	;; [unrolled: 1-line block ×3, first 2 shown]
	.long	764233331                       ; 0x2d8d4673
	.long	1794763428                      ; 0x6af9eaa4
	.long	3005903468                      ; 0xb32a726c
	.long	877926770                       ; 0x34541972
	.long	2466593927                      ; 0x93053c87
	.long	2971729561                      ; 0xb120fe99
	;; [unrolled: 1-line block ×4, first 2 shown]
	.long	815665759                       ; 0x309e125f
	.long	2434508139                      ; 0x911ba56b
	.long	1840456368                      ; 0x6db322b0
	;; [unrolled: 1-line block ×3, first 2 shown]
	.long	17077200                        ; 0x10493d0
	.long	3178380570                      ; 0xbd723d1a
	.long	990304199                       ; 0x3b06d7c7
	.long	3578008580                      ; 0xd5441404
	.long	1965763660                      ; 0x752b2c4c
	;; [unrolled: 1-line block ×3, first 2 shown]
	.long	750159594                       ; 0x2cb686ea
	.long	2047409402                      ; 0x7a08fcfa
	.long	3576308245                      ; 0xd52a2215
	.long	544920564                       ; 0x207ad3f4
	.long	1730124869                      ; 0x671f9c45
	.long	1194761386                      ; 0x47369caa
	;; [unrolled: 1-line block ×3, first 2 shown]
	.long	147334027                       ; 0x8c8238b
	.long	2870674244                      ; 0xab1b0344
	.long	2076860776                      ; 0x7bca6168
	;; [unrolled: 1-line block ×4, first 2 shown]
	.long	401966468                       ; 0x17f58584
	.long	1610650855                      ; 0x600094e7
	.long	193868446                       ; 0xb8e329e
	.long	3808157106                      ; 0xe2fbddb2
	.long	1509130117                      ; 0x59f37f85
	;; [unrolled: 1-line block ×8, first 2 shown]
	.long	682550058                       ; 0x28aee32a
	.long	4281899173                      ; 0xff3898a5
	.long	137171998                       ; 0x82d141e
	.long	3239159214                      ; 0xc111a5ae
	.long	2258610918                      ; 0x869faae6
	.long	426724741                       ; 0x196f4d85
	.long	3502660993                      ; 0xd0c65d81
	.long	135977383                       ; 0x81ad9a7
	.long	429929363                       ; 0x19a03393
	.long	3984458137                      ; 0xed7e0199
	.long	964026748                       ; 0x3975e17c
	.long	2182019070                      ; 0x820ef7fe
	.long	3836562946                      ; 0xe4ad4e02
	.long	515026869                       ; 0x1eb2afb5
	.long	359030455                       ; 0x15665eb7
	.long	1301694917                      ; 0x4d9649c5
	.long	2300414803                      ; 0x891d8b53
	;; [unrolled: 1-line block ×4, first 2 shown]
	.long	171119249                       ; 0xa331291
	.long	2646785698                      ; 0x9dc2bea2
	.long	4283509387                      ; 0xff512a8b
	;; [unrolled: 1-line block ×6, first 2 shown]
	.long	23007314                        ; 0x15f1052
	.long	3598880509                      ; 0xd6828efd
	.long	4160517314                      ; 0xf7fc74c2
	.long	112205578                       ; 0x6b01f0a
	.long	1677675411                      ; 0x63ff4b93
	.long	734881643                       ; 0x2bcd676b
	.long	2830770338                      ; 0xa8ba20a2
	.long	3470317145                      ; 0xced8d659
	;; [unrolled: 1-line block ×18, first 2 shown]
	.long	764751784                       ; 0x2d952fa8
	.long	3006878591                      ; 0xb339537f
	.long	2565473087                      ; 0x98ea033f
	;; [unrolled: 1-line block ×4, first 2 shown]
	.long	630435548                       ; 0x2593aedc
	.long	73598765                        ; 0x463072d
	.long	1467331930                      ; 0x5775b55a
	.long	3988027050                      ; 0xedb476aa
	.long	2771962200                      ; 0xa538c958
	.long	91261543                        ; 0x5708a67
	.long	980989218                       ; 0x3a78b522
	.long	2227515435                      ; 0x84c5302b
	.long	236831608                       ; 0xe1dc378
	.long	2872772569                      ; 0xab3b07d9
	.long	2330469327                      ; 0x8ae823cf
	;; [unrolled: 1-line block ×5, first 2 shown]
	.long	126418114                       ; 0x788fcc2
	.long	127789935                       ; 0x79deb6f
	.long	2114249438                      ; 0x7e04e2de
	.long	2933346767                      ; 0xaed751cf
	.long	639483386                       ; 0x261dbdfa
	.long	1532399845                      ; 0x5b5690e5
	.long	2182422151                      ; 0x82151e87
	;; [unrolled: 3-line block ×3, first 2 shown]
	.long	3828295651                      ; 0xe42f27e3
	.long	3963199356                      ; 0xec399f7c
	;; [unrolled: 1-line block ×6, first 2 shown]
	.long	432131993                       ; 0x19c1cf99
	.long	667709537                       ; 0x27cc7061
	;; [unrolled: 1-line block ×3, first 2 shown]
	.long	2304714957                      ; 0x895f28cd
	.long	629309008                       ; 0x25827e50
	.long	116453438                       ; 0x6f0f03e
	.long	3051811727                      ; 0xb5e6f38f
	.long	3490241985                      ; 0xd008ddc1
	;; [unrolled: 1-line block ×26, first 2 shown]
	.long	799826424                       ; 0x2fac61f8
	.long	3094672168                      ; 0xb874f328
	.long	3535834360                      ; 0xd2c08cf8
	;; [unrolled: 1-line block ×4, first 2 shown]
	.long	520495112                       ; 0x1f062008
	.long	575315345                       ; 0x224a9d91
	.long	3823364867                      ; 0xe3e3eb03
	.long	2424349582                      ; 0x9080a38e
	;; [unrolled: 1-line block ×3, first 2 shown]
	.long	310789314                       ; 0x128644c2
	.long	4207205257                      ; 0xfac4db89
	.long	553462404                       ; 0x20fd2a84
	.long	2918228443                      ; 0xadf0a1db
	.long	2568360580                      ; 0x99161284
	;; [unrolled: 1-line block ×3, first 2 shown]
	.long	874197736                       ; 0x341b32e8
	.long	3329267685                      ; 0xc67097e5
	.long	1186352580                      ; 0x46b64dc4
	;; [unrolled: 1-line block ×8, first 2 shown]
	.long	990374143                       ; 0x3b07e8ff
	.long	2080149357                      ; 0x7bfc8f6d
	.long	4047813631                      ; 0xf144bbff
	.long	2019887940                      ; 0x78650b44
	.long	578660736                       ; 0x227da980
	.long	2145680301                      ; 0x7fe47bad
	.long	2328411541                      ; 0x8ac8bd95
	.long	1572704242                      ; 0x5dbd8ff2
	;; [unrolled: 4-line block ×3, first 2 shown]
	.long	1385163990                      ; 0x528fecd6
	.long	1935250885                      ; 0x735995c5
	.long	1132987169                      ; 0x43880321
	.long	581690993                       ; 0x22abe671
	.long	3172043012                      ; 0xbd118904
	.long	628071512                       ; 0x256f9c58
	.long	2851125739                      ; 0xa9f0b9eb
	.long	2735324847                      ; 0xa309beaf
	;; [unrolled: 1-line block ×5, first 2 shown]
	.long	706277272                       ; 0x2a18ef98
	.long	2971786942                      ; 0xb121debe
	.long	2811957324                      ; 0xa79b104c
	;; [unrolled: 1-line block ×5, first 2 shown]
	.long	31952251                        ; 0x1e78d7b
	.long	2802110464                      ; 0xa704d000
	.long	2391618856                      ; 0x8e8d3528
	;; [unrolled: 1-line block ×6, first 2 shown]
	.long	101928462                       ; 0x6134e0e
	.long	477629709                       ; 0x1c780d0d
	.long	4257022506                      ; 0xfdbd022a
	.long	3281706767                      ; 0xc39adf0f
	;; [unrolled: 1-line block ×3, first 2 shown]
	.long	736533968                       ; 0x2be69dd0
	.long	2543083137                      ; 0x97945e81
	.long	3430523686                      ; 0xcc79a326
	;; [unrolled: 1-line block ×4, first 2 shown]
	.long	341993500                       ; 0x1462681c
	.long	406782950                       ; 0x183f03e6
	.long	1770032304                      ; 0x69808cb0
	.long	125786076                       ; 0x77f57dc
	.long	1321359723                      ; 0x4ec2596b
	.long	2901696227                      ; 0xacf45ee3
	;; [unrolled: 1-line block ×6, first 2 shown]
	.long	914173231                       ; 0x367d2d2f
	.long	3734092059                      ; 0xde91b91b
	.long	1652333721                      ; 0x627c9c99
	;; [unrolled: 1-line block ×3, first 2 shown]
	.long	329706426                       ; 0x13a6ebba
	.long	1022239203                      ; 0x3cee21e3
	.long	1832393502                      ; 0x6d381b1e
	;; [unrolled: 1-line block ×5, first 2 shown]
	.long	366391010                       ; 0x15d6aee2
	.long	2237068647                      ; 0x8556f567
	.long	2887356463                      ; 0xac19902f
	.long	304718827                       ; 0x1229a3eb
	.long	3969799795                      ; 0xec9e5673
	.long	2565473087                      ; 0x98ea033f
	;; [unrolled: 1-line block ×4, first 2 shown]
	.long	630435548                       ; 0x2593aedc
	.long	3758124054                      ; 0xe0006c16
	.long	1467331930                      ; 0x5775b55a
	;; [unrolled: 1-line block ×4, first 2 shown]
	.long	91261543                        ; 0x5708a67
	.long	836545831                       ; 0x31dcad27
	.long	2227515435                      ; 0x84c5302b
	.long	236831608                       ; 0xe1dc378
	.long	2872772569                      ; 0xab3b07d9
	.long	2330469327                      ; 0x8ae823cf
	;; [unrolled: 1-line block ×5, first 2 shown]
	.long	126418114                       ; 0x788fcc2
	.long	127789935                       ; 0x79deb6f
	.long	1648940583                      ; 0x6248d627
	.long	2933346767                      ; 0xaed751cf
	.long	639483386                       ; 0x261dbdfa
	.long	1532399845                      ; 0x5b5690e5
	.long	2182422151                      ; 0x82151e87
	;; [unrolled: 1-line block ×11, first 2 shown]
	.long	432131993                       ; 0x19c1cf99
	.long	2416600665                      ; 0x900a6659
	.long	874477513                       ; 0x341f77c9
	.long	2304714957                      ; 0x895f28cd
	.long	629309008                       ; 0x25827e50
	.long	116453438                       ; 0x6f0f03e
	.long	2586542760                      ; 0x9a2b82a8
	.long	3490241985                      ; 0xd008ddc1
	;; [unrolled: 1-line block ×5, first 2 shown]
	.long	452934545                       ; 0x1aff3b91
	.long	2408437363                      ; 0x8f8dd673
	.long	1433161037                      ; 0x556c4d4d
	;; [unrolled: 1-line block ×19, first 2 shown]
	.long	130979316                       ; 0x7ce95f4
	.long	799826424                       ; 0x2fac61f8
	.long	3094672168                      ; 0xb874f328
	.long	3535834360                      ; 0xd2c08cf8
	;; [unrolled: 1-line block ×3, first 2 shown]
	.long	935499492                       ; 0x37c296e4
	.long	520495112                       ; 0x1f062008
	;; [unrolled: 1-line block ×3, first 2 shown]
	.long	3823364867                      ; 0xe3e3eb03
	.long	2424349582                      ; 0x9080a38e
	;; [unrolled: 1-line block ×3, first 2 shown]
	.long	310789314                       ; 0x128644c2
	.long	4207205257                      ; 0xfac4db89
	.long	553462404                       ; 0x20fd2a84
	.long	2918228443                      ; 0xadf0a1db
	.long	2613016888                      ; 0x9bbf7938
	.long	3863565851                      ; 0xe649561b
	.long	874197736                       ; 0x341b32e8
	.long	3329267685                      ; 0xc67097e5
	.long	1186352580                      ; 0x46b64dc4
	;; [unrolled: 1-line block ×8, first 2 shown]
	.long	990374143                       ; 0x3b07e8ff
	.long	2080149357                      ; 0x7bfc8f6d
	.long	4047813631                      ; 0xf144bbff
	;; [unrolled: 1-line block ×7, first 2 shown]
	.long	405739686                       ; 0x182f18a6
	.long	63633520                        ; 0x3caf870
	.long	2046317220                      ; 0x79f852a4
	.long	4021497634                      ; 0xefb32f22
	;; [unrolled: 1-line block ×5, first 2 shown]
	.long	581690993                       ; 0x22abe671
	.long	3172043012                      ; 0xbd118904
	.long	628071512                       ; 0x256f9c58
	.long	2851125739                      ; 0xa9f0b9eb
	.long	3726073981                      ; 0xde17607d
	;; [unrolled: 1-line block ×5, first 2 shown]
	.long	706277272                       ; 0x2a18ef98
	.long	3817450114                      ; 0xe389aa82
	.long	2811957324                      ; 0xa79b104c
	;; [unrolled: 1-line block ×12, first 2 shown]
	.long	101928462                       ; 0x6134e0e
	.long	477629709                       ; 0x1c780d0d
	.long	4257022506                      ; 0xfdbd022a
	.long	2679409844                      ; 0x9fb48cb4
	;; [unrolled: 1-line block ×3, first 2 shown]
	.long	736533968                       ; 0x2be69dd0
	.long	2543083137                      ; 0x97945e81
	.long	3430523686                      ; 0xcc79a326
	;; [unrolled: 1-line block ×4, first 2 shown]
	.long	341993500                       ; 0x1462681c
	.long	406782950                       ; 0x183f03e6
	.long	1770032304                      ; 0x69808cb0
	.long	2617760292                      ; 0x9c07da24
	;; [unrolled: 1-line block ×8, first 2 shown]
	.long	914173231                       ; 0x367d2d2f
	.long	3734092059                      ; 0xde91b91b
	.long	1652333721                      ; 0x627c9c99
	;; [unrolled: 1-line block ×3, first 2 shown]
	.long	329706426                       ; 0x13a6ebba
	.long	1022239203                      ; 0x3cee21e3
	.long	1832393502                      ; 0x6d381b1e
	;; [unrolled: 1-line block ×5, first 2 shown]
	.long	366391010                       ; 0x15d6aee2
	.long	2237068647                      ; 0x8556f567
	.long	2887356463                      ; 0xac19902f
	.long	1479646555                      ; 0x58319d5b
	.long	3969799795                      ; 0xec9e5673
	.long	2565473087                      ; 0x98ea033f
	.long	1149521056                      ; 0x44844ca0
	.long	3529037691                      ; 0xd258d77b
	.long	2379195579                      ; 0x8dcfa4bb
	.long	3758124054                      ; 0xe0006c16
	.long	1467331930                      ; 0x5775b55a
	.long	3988027050                      ; 0xedb476aa
	.long	2771962200                      ; 0xa538c958
	.long	1796797949                      ; 0x6b18f5fd
	.long	836545831                       ; 0x31dcad27
	.long	2227515435                      ; 0x84c5302b
	.long	236831608                       ; 0xe1dc378
	.long	2872772569                      ; 0xab3b07d9
	;; [unrolled: 2-line block ×3, first 2 shown]
	.long	2883791516                      ; 0xabe32a9c
	.long	4170143763                      ; 0xf88f5813
	.long	126418114                       ; 0x788fcc2
	.long	3811390247                      ; 0xe32d3327
	.long	1648940583                      ; 0x6248d627
	;; [unrolled: 1-line block ×3, first 2 shown]
	.long	639483386                       ; 0x261dbdfa
	.long	1532399845                      ; 0x5b5690e5
	.long	4165970043                      ; 0xf84fa87b
	.long	2470139222                      ; 0x933b5556
	.long	2376371063                      ; 0x8da48b77
	.long	3398508789                      ; 0xca9120f5
	.long	3828295651                      ; 0xe42f27e3
	.long	4066952157                      ; 0xf268c3dd
	.long	2997263135                      ; 0xb2a69b1f
	.long	4206759111                      ; 0xfabe0cc7
	.long	1266176088                      ; 0x4b785058
	.long	3210273687                      ; 0xbf58e397
	.long	560560354                       ; 0x216978e2
	.long	2416600665                      ; 0x900a6659
	.long	874477513                       ; 0x341f77c9
	.long	2304714957                      ; 0x895f28cd
	;; [unrolled: 2-line block ×3, first 2 shown]
	.long	2586542760                      ; 0x9a2b82a8
	.long	3490241985                      ; 0xd008ddc1
	;; [unrolled: 1-line block ×4, first 2 shown]
	.long	855615381                       ; 0x32ffa795
	.long	452934545                       ; 0x1aff3b91
	.long	2408437363                      ; 0x8f8dd673
	.long	1433161037                      ; 0x556c4d4d
	;; [unrolled: 1-line block ×19, first 2 shown]
	.long	130979316                       ; 0x7ce95f4
	.long	799826424                       ; 0x2fac61f8
	.long	3094672168                      ; 0xb874f328
	.long	3535834360                      ; 0xd2c08cf8
	.long	915442396                       ; 0x36908adc
	.long	935499492                       ; 0x37c296e4
	;; [unrolled: 1-line block ×4, first 2 shown]
	.long	3823364867                      ; 0xe3e3eb03
	.long	2876158574                      ; 0xab6eb26e
	;; [unrolled: 1-line block ×3, first 2 shown]
	.long	310789314                       ; 0x128644c2
	.long	4207205257                      ; 0xfac4db89
	.long	553462404                       ; 0x20fd2a84
	.long	2184663001                      ; 0x82374fd9
	.long	2613016888                      ; 0x9bbf7938
	;; [unrolled: 1-line block ×3, first 2 shown]
	.long	874197736                       ; 0x341b32e8
	.long	3329267685                      ; 0xc67097e5
	.long	3447734684                      ; 0xcd80419c
	.long	4106984978                      ; 0xf4cb9e12
	.long	1780200631                      ; 0x6a1bb4b7
	.long	4088289456                      ; 0xf3ae58b0
	.long	3323217870                      ; 0xc61447ce
	.long	2748493470                      ; 0xa3d2ae9e
	.long	1559861146                      ; 0x5cf9979a
	.long	990374143                       ; 0x3b07e8ff
	.long	2080149357                      ; 0x7bfc8f6d
	.long	4047813631                      ; 0xf144bbff
	;; [unrolled: 1-line block ×8, first 2 shown]
	.long	63633520                        ; 0x3caf870
	.long	2046317220                      ; 0x79f852a4
	.long	4021497634                      ; 0xefb32f22
	;; [unrolled: 1-line block ×5, first 2 shown]
	.long	581690993                       ; 0x22abe671
	.long	3172043012                      ; 0xbd118904
	.long	628071512                       ; 0x256f9c58
	.long	2790170929                      ; 0xa64ea131
	.long	3726073981                      ; 0xde17607d
	;; [unrolled: 1-line block ×15, first 2 shown]
	.long	453222948                       ; 0x1b03a224
	.long	2210258428                      ; 0x83bdddfc
	.long	2825634835                      ; 0xa86bc413
	.long	101928462                       ; 0x6134e0e
	.long	477629709                       ; 0x1c780d0d
	;; [unrolled: 1-line block ×3, first 2 shown]
	.long	2679409844                      ; 0x9fb48cb4
	.long	2576087732                      ; 0x998bfab4
	.long	736533968                       ; 0x2be69dd0
	.long	2543083137                      ; 0x97945e81
	.long	1101977922                      ; 0x41aed942
	;; [unrolled: 1-line block ×4, first 2 shown]
	.long	341993500                       ; 0x1462681c
	.long	406782950                       ; 0x183f03e6
	.long	3057489804                      ; 0xb63d978c
	.long	2617760292                      ; 0x9c07da24
	;; [unrolled: 1-line block ×8, first 2 shown]
	.long	914173231                       ; 0x367d2d2f
	.long	3734092059                      ; 0xde91b91b
	.long	908525903                       ; 0x3627014f
	.long	3456779008                      ; 0xce0a4300
	;; [unrolled: 2-line block ×3, first 2 shown]
	.long	1832393502                      ; 0x6d381b1e
	.long	4024857205                      ; 0xefe67275
	;; [unrolled: 1-line block ×4, first 2 shown]
	.long	366391010                       ; 0x15d6aee2
	.long	2237068647                      ; 0x8556f567
	.long	1564059380                      ; 0x5d39a6f4
	.long	1479646555                      ; 0x58319d5b
	.long	3969799795                      ; 0xec9e5673
	.long	2565473087                      ; 0x98ea033f
	.long	1149521056                      ; 0x44844ca0
	.long	2808155917                      ; 0xa7610f0d
	.long	2379195579                      ; 0x8dcfa4bb
	.long	3758124054                      ; 0xe0006c16
	.long	1467331930                      ; 0x5775b55a
	.long	3988027050                      ; 0xedb476aa
	.long	810008243                       ; 0x3047beb3
	.long	1796797949                      ; 0x6b18f5fd
	.long	836545831                       ; 0x31dcad27
	.long	2227515435                      ; 0x84c5302b
	.long	236831608                       ; 0xe1dc378
	.long	608273331                       ; 0x244183b3
	.long	544017308                       ; 0x206d0b9c
	.long	3439193753                      ; 0xccfdee99
	.long	2883791516                      ; 0xabe32a9c
	.long	4170143763                      ; 0xf88f5813
	.long	3309288977                      ; 0xc53fbe11
	.long	3811390247                      ; 0xe32d3327
	.long	1648940583                      ; 0x6248d627
	.long	2933346767                      ; 0xaed751cf
	.long	639483386                       ; 0x261dbdfa
	.long	1685761277                      ; 0x647aacfd
	.long	4165970043                      ; 0xf84fa87b
	;; [unrolled: 1-line block ×10, first 2 shown]
	.long	333592630                       ; 0x13e23836
	.long	560560354                       ; 0x216978e2
	.long	2416600665                      ; 0x900a6659
	.long	874477513                       ; 0x341f77c9
	.long	2304714957                      ; 0x895f28cd
	.long	1438974661                      ; 0x55c502c5
	;; [unrolled: 1-line block ×7, first 2 shown]
	.long	855615381                       ; 0x32ffa795
	.long	452934545                       ; 0x1aff3b91
	.long	2408437363                      ; 0x8f8dd673
	.long	1433161037                      ; 0x556c4d4d
	;; [unrolled: 1-line block ×19, first 2 shown]
	.long	130979316                       ; 0x7ce95f4
	.long	799826424                       ; 0x2fac61f8
	.long	3094672168                      ; 0xb874f328
	.long	2214560871                      ; 0x83ff8467
	.long	915442396                       ; 0x36908adc
	.long	935499492                       ; 0x37c296e4
	;; [unrolled: 1-line block ×4, first 2 shown]
	.long	3894763683                      ; 0xe82560a3
	.long	2876158574                      ; 0xab6eb26e
	.long	2272973265                      ; 0x877ad1d1
	.long	310789314                       ; 0x128644c2
	.long	4207205257                      ; 0xfac4db89
	.long	3203740771                      ; 0xbef53463
	.long	2184663001                      ; 0x82374fd9
	.long	2613016888                      ; 0x9bbf7938
	.long	3863565851                      ; 0xe649561b
	.long	874197736                       ; 0x341b32e8
	.long	3371653768                      ; 0xc8f75a88
	.long	3447734684                      ; 0xcd80419c
	;; [unrolled: 6-line block ×3, first 2 shown]
	.long	990374143                       ; 0x3b07e8ff
	.long	2080149357                      ; 0x7bfc8f6d
	.long	554816113                       ; 0x2111d271
	.long	2728282767                      ; 0xa29e4a8f
	.long	1133329900                      ; 0x438d3dec
	;; [unrolled: 1-line block ×6, first 2 shown]
	.long	63633520                        ; 0x3caf870
	.long	2046317220                      ; 0x79f852a4
	.long	4021497634                      ; 0xefb32f22
	;; [unrolled: 1-line block ×5, first 2 shown]
	.long	581690993                       ; 0x22abe671
	.long	3172043012                      ; 0xbd118904
	.long	3142596028                      ; 0xbb5035bc
	;; [unrolled: 1-line block ×17, first 2 shown]
	.long	453222948                       ; 0x1b03a224
	.long	2210258428                      ; 0x83bdddfc
	.long	2825634835                      ; 0xa86bc413
	.long	101928462                       ; 0x6134e0e
	.long	26373721                        ; 0x1926e59
	.long	410621659                       ; 0x187996db
	.long	2679409844                      ; 0x9fb48cb4
	.long	2576087732                      ; 0x998bfab4
	.long	736533968                       ; 0x2be69dd0
	.long	888001208                       ; 0x34edd2b8
	.long	1101977922                      ; 0x41aed942
	.long	1122549807                      ; 0x42e8c02f
	;; [unrolled: 1-line block ×3, first 2 shown]
	.long	341993500                       ; 0x1462681c
	.long	3243663736                      ; 0xc1566178
	.long	3057489804                      ; 0xb63d978c
	;; [unrolled: 1-line block ×9, first 2 shown]
	.long	914173231                       ; 0x367d2d2f
	.long	1857869366                      ; 0x6ebcd636
	.long	908525903                       ; 0x3627014f
	.long	3456779008                      ; 0xce0a4300
	;; [unrolled: 2-line block ×3, first 2 shown]
	.long	2622178179                      ; 0x9c4b4383
	.long	4024857205                      ; 0xefe67275
	;; [unrolled: 1-line block ×4, first 2 shown]
	.long	366391010                       ; 0x15d6aee2
	.long	3722250905                      ; 0xdddd0a99
	.long	2880126367                      ; 0xabab3d9f
	.long	4102186560                      ; 0xf4826640
	.long	1642831571                      ; 0x61eb9ed3
	.long	2222486636                      ; 0x8478746c
	.long	2572764729                      ; 0x99594639
	.long	2046028516                      ; 0x79f3eae4
	.long	3507603612                      ; 0xd111c89c
	.long	1703451134                      ; 0x658899fe
	.long	89818497                        ; 0x55a8581
	.long	1961701523                      ; 0x74ed3093
	.long	3704300476                      ; 0xdccb23bc
	;; [unrolled: 1-line block ×8, first 2 shown]
	.long	956677756                       ; 0x3905be7c
	.long	2073145924                      ; 0x7b91b244
	.long	726634994                       ; 0x2b4f91f2
	.long	119064196                       ; 0x718c684
	.long	2046275296                      ; 0x79f7aee0
	.long	2105141632                      ; 0x7d79e980
	;; [unrolled: 1-line block ×4, first 2 shown]
	.long	623740611                       ; 0x252d86c3
	.long	1419328884                      ; 0x54993d74
	.long	933734693                       ; 0x37a7a925
	.long	2030900835                      ; 0x790d1663
	.long	2556538268                      ; 0x9861ad9c
	;; [unrolled: 1-line block ×10, first 2 shown]
	.long	330223096                       ; 0x13aecdf8
	.long	3915966823                      ; 0xe968e967
	.long	2646760259                      ; 0x9dc25b43
	;; [unrolled: 1-line block ×5, first 2 shown]
	.long	110922222                       ; 0x69c89ee
	.long	2314933196                      ; 0x89fb13cc
	.long	4026908935                      ; 0xf005c107
	;; [unrolled: 1-line block ×4, first 2 shown]
	.long	84271650                        ; 0x505e222
	.long	731354215                       ; 0x2b979467
	.long	2358136447                      ; 0x8c8e4e7f
	.long	1069348214                      ; 0x3fbcf576
	;; [unrolled: 1-line block ×7, first 2 shown]
	.long	54276972                        ; 0x33c336c
	.long	560967905                       ; 0x216fb0e1
	.long	2363475740                      ; 0x8cdfc71c
	.long	331250049                       ; 0x13be7981
	.long	3024074455                      ; 0xb43fb6d7
	.long	186605617                       ; 0xb1f6031
	.long	389582566                       ; 0x17388ee6
	.long	1258386782                      ; 0x4b01755e
	.long	703909543                       ; 0x29f4cea7
	.long	3968367083                      ; 0xec8879eb
	.long	1553533794                      ; 0x5c990b62
	;; [unrolled: 1-line block ×4, first 2 shown]
	.long	921983735                       ; 0x36f45af7
	.long	3573813763                      ; 0xd5041203
	.long	1280477631                      ; 0x4c5289bf
	;; [unrolled: 1-line block ×9, first 2 shown]
	.long	785284052                       ; 0x2ece7bd4
	.long	4227164890                      ; 0xfbf56ada
	.long	2874735332                      ; 0xab58fae4
	;; [unrolled: 1-line block ×7, first 2 shown]
	.long	456550349                       ; 0x1b3667cd
	.long	1143881236                      ; 0x442e3e14
	.long	3560103440                      ; 0xd432de10
	;; [unrolled: 1-line block ×9, first 2 shown]
	.long	148227073                       ; 0x8d5c401
	.long	3812110998                      ; 0xe3383296
	.long	1317300278                      ; 0x4e846836
	;; [unrolled: 1-line block ×10, first 2 shown]
	.long	869158554                       ; 0x33ce4e9a
	.long	245101118                       ; 0xe9bf23e
	.long	1724974650                      ; 0x66d1063a
	.long	3851803199                      ; 0xe595da3f
	.long	922411232                       ; 0x36fae0e0
	.long	3046280696                      ; 0xb5928df8
	.long	3284392523                      ; 0xc3c3da4b
	;; [unrolled: 1-line block ×4, first 2 shown]
	.long	381450957                       ; 0x16bc7acd
	.long	1741009694                      ; 0x67c5b31e
	.long	4222244451                      ; 0xfbaa5663
	.long	102929888                       ; 0x62295e0
	.long	1668474417                      ; 0x6372e631
	.long	3881791214                      ; 0xe75f6eee
	;; [unrolled: 1-line block ×9, first 2 shown]
	.long	720438965                       ; 0x2af106b5
	.long	2120786297                      ; 0x7e68a179
	.long	453980990                       ; 0x1b0f333e
	.long	1048501876                      ; 0x3e7ede74
	.long	4060576583                      ; 0xf2077b47
	;; [unrolled: 1-line block ×4, first 2 shown]
	.long	691572481                       ; 0x29388f01
	.long	3899584121                      ; 0xe86eee79
	.long	1582529013                      ; 0x5e5379f5
	;; [unrolled: 1-line block ×8, first 2 shown]
	.long	249758705                       ; 0xee303f1
	.long	1535363329                      ; 0x5b83c901
	.long	893329207                       ; 0x353f1f37
	.long	51912312                        ; 0x3181e78
	.long	3440532856                      ; 0xcd125d78
	.long	3736385218                      ; 0xdeb4b6c2
	.long	295452658                       ; 0x119c3ff2
	.long	2379709553                      ; 0x8dd77c71
	.long	1647382020                      ; 0x62310e04
	;; [unrolled: 1-line block ×10, first 2 shown]
	.long	282442925                       ; 0x10d5bcad
	.long	2418524976                      ; 0x9027c330
	.long	3196072648                      ; 0xbe8032c8
	;; [unrolled: 1-line block ×17, first 2 shown]
	.long	8772004                         ; 0x85d9a4
	.long	2476324234                      ; 0x9399b58a
	.long	3600148050                      ; 0xd695e652
	;; [unrolled: 1-line block ×4, first 2 shown]
	.long	108768238                       ; 0x67babee
	.long	1339513738                      ; 0x4fd75b8a
	.long	447593731                       ; 0x1aadbd03
	.long	2742877256                      ; 0xa37cfc48
	.long	2488536667                      ; 0x94540e5b
	;; [unrolled: 1-line block ×3, first 2 shown]
	.long	808657962                       ; 0x3033242a
	.long	2422880287                      ; 0x906a381f
	.long	390864786                       ; 0x174c1f92
	.long	3381554683                      ; 0xc98e6dfb
	.long	760628048                       ; 0x2d564350
	.long	353395922                       ; 0x151064d2
	.long	3577556262                      ; 0xd53d2d26
	.long	2482413928                      ; 0x93f6a168
	.long	507756643                       ; 0x1e43c063
	.long	839344953                       ; 0x32076339
	.long	3505184848                      ; 0xd0ece050
	.long	3945044582                      ; 0xeb249a66
	;; [unrolled: 1-line block ×21, first 2 shown]
	.long	932941454                       ; 0x379b8e8e
	.long	4276317539                      ; 0xfee36d63
	.long	343449784                       ; 0x1478a0b8
	.long	1913556027                      ; 0x720e8c3b
	.long	1493892363                      ; 0x590afd0b
	.long	2539517630                      ; 0x975df6be
	.long	2046391233                      ; 0x79f973c1
	.long	3046108187                      ; 0xb58fec1b
	.long	28742917                        ; 0x1b69505
	.long	4009448584                      ; 0xeefb5488
	.long	530945117                       ; 0x1fa5945d
	.long	3165875131                      ; 0xbcb36bbb
	.long	1018448712                      ; 0x3cb44b48
	.long	110256395                       ; 0x692610b
	.long	3550192264                      ; 0xd39ba288
	.long	1279873435                      ; 0x4c49519b
	;; [unrolled: 1-line block ×3, first 2 shown]
	.long	517650895                       ; 0x1edab9cf
	.long	1957973772                      ; 0x74b44f0c
	.long	619869608                       ; 0x24f275a8
	.long	4260458157                      ; 0xfdf16ead
	.long	2281748739                      ; 0x8800b903
	;; [unrolled: 1-line block ×5, first 2 shown]
	.long	508630251                       ; 0x1e5114eb
	.long	3761850170                      ; 0xe039473a
	.long	3992979014                      ; 0xee000646
	.long	2298047038                      ; 0x88f96a3e
	.long	3506428315                      ; 0xd0ffd99b
	.long	1279341556                      ; 0x4c4133f4
	.long	3293496518                      ; 0xc44ec4c6
	.long	1313470495                      ; 0x4e49f81f
	.long	1021100687                      ; 0x3cdcc28f
	.long	3113171268                      ; 0xb98f3944
	.long	798494760                       ; 0x2f981028
	.long	2981622008                      ; 0xb1b7f0f8
	.long	4152623583                      ; 0xf78401df
	.long	576409629                       ; 0x225b501d
	.long	2312811213                      ; 0x89dab2cd
	.long	992326282                       ; 0x3b25b28a
	.long	261645450                       ; 0xf98648a
	.long	1818084365                      ; 0x6c5dc40d
	.long	3357150904                      ; 0xc81a0eb8
	.long	144093                          ; 0x232dd
	.long	1937589359                      ; 0x737d446f
	.long	2016990596                      ; 0x7838d584
	;; [unrolled: 1-line block ×3, first 2 shown]
	.long	588267732                       ; 0x231040d4
	.long	3592151118                      ; 0xd61be04e
	.long	3846596932                      ; 0xe5466944
	.long	1198111464                      ; 0x4769bae8
	.long	944363907                       ; 0x3849d983
	.long	1288613766                      ; 0x4cceaf86
	.long	1707163456                      ; 0x65c13f40
	;; [unrolled: 1-line block ×12, first 2 shown]
	.long	361099994                       ; 0x1585f2da
	.long	3566745727                      ; 0xd498387f
	.long	3658112707                      ; 0xda0a5ec3
	;; [unrolled: 1-line block ×8, first 2 shown]
	.long	130421713                       ; 0x7c613d1
	.long	2658878825                      ; 0x9e7b4569
	.long	1566180833                      ; 0x5d5a05e1
	.long	1572228417                      ; 0x5db64d41
	.long	531947625                       ; 0x1fb4e069
	.long	3774861000                      ; 0xe0ffcec8
	.long	1894712110                      ; 0x70ef032e
	.long	1319199233                      ; 0x4ea16201
	;; [unrolled: 4-line block ×4, first 2 shown]
	.long	497511195                       ; 0x1da76b1b
	.long	720616881                       ; 0x2af3bdb1
	;; [unrolled: 1-line block ×3, first 2 shown]
	.long	2404505137                      ; 0x8f51d631
	.long	2656498433                      ; 0x9e56f301
	;; [unrolled: 1-line block ×8, first 2 shown]
	.long	282442925                       ; 0x10d5bcad
	.long	2418524976                      ; 0x9027c330
	.long	3196072648                      ; 0xbe8032c8
	;; [unrolled: 1-line block ×17, first 2 shown]
	.long	825853576                       ; 0x31398688
	.long	2476324234                      ; 0x9399b58a
	.long	3600148050                      ; 0xd695e652
	;; [unrolled: 1-line block ×4, first 2 shown]
	.long	528751585                       ; 0x1f841be1
	.long	1339513738                      ; 0x4fd75b8a
	.long	447593731                       ; 0x1aadbd03
	.long	2742877256                      ; 0xa37cfc48
	.long	2488536667                      ; 0x94540e5b
	;; [unrolled: 1-line block ×3, first 2 shown]
	.long	808657962                       ; 0x3033242a
	.long	2422880287                      ; 0x906a381f
	.long	390864786                       ; 0x174c1f92
	.long	3381554683                      ; 0xc98e6dfb
	.long	2682225618                      ; 0x9fdf83d2
	.long	353395922                       ; 0x151064d2
	.long	3577556262                      ; 0xd53d2d26
	;; [unrolled: 3-line block ×3, first 2 shown]
	.long	3505184848                      ; 0xd0ece050
	.long	3945044582                      ; 0xeb249a66
	.long	2414915836                      ; 0x8ff0b0fc
	.long	2313624497                      ; 0x89e71bb1
	.long	1841224078                      ; 0x6dbed98e
	.long	2036999647                      ; 0x796a25df
	.long	1369090013                      ; 0x519aa7dd
	.long	3264575895                      ; 0xc2957997
	.long	1096327239                      ; 0x4158a047
	.long	607843308                       ; 0x243af3ec
	.long	3999302048                      ; 0xee6081a0
	.long	2761563885                      ; 0xa49a1eed
	;; [unrolled: 1-line block ×9, first 2 shown]
	.long	420486142                       ; 0x19101bfe
	.long	1314806730                      ; 0x4e5e5bca
	.long	932941454                       ; 0x379b8e8e
	.long	4276317539                      ; 0xfee36d63
	;; [unrolled: 2-line block ×3, first 2 shown]
	.long	1493892363                      ; 0x590afd0b
	.long	2539517630                      ; 0x975df6be
	;; [unrolled: 1-line block ×6, first 2 shown]
	.long	530945117                       ; 0x1fa5945d
	.long	3165875131                      ; 0xbcb36bbb
	.long	1018448712                      ; 0x3cb44b48
	;; [unrolled: 1-line block ×6, first 2 shown]
	.long	517650895                       ; 0x1edab9cf
	.long	4036312766                      ; 0xf0953ebe
	.long	619869608                       ; 0x24f275a8
	.long	4260458157                      ; 0xfdf16ead
	.long	2281748739                      ; 0x8800b903
	;; [unrolled: 1-line block ×5, first 2 shown]
	.long	508630251                       ; 0x1e5114eb
	.long	3761850170                      ; 0xe039473a
	.long	3992979014                      ; 0xee000646
	;; [unrolled: 1-line block ×9, first 2 shown]
	.long	798494760                       ; 0x2f981028
	.long	2981622008                      ; 0xb1b7f0f8
	.long	4152623583                      ; 0xf78401df
	;; [unrolled: 1-line block ×4, first 2 shown]
	.long	992326282                       ; 0x3b25b28a
	.long	261645450                       ; 0xf98648a
	.long	1818084365                      ; 0x6c5dc40d
	.long	3681154045                      ; 0xdb69f3fd
	.long	144093                          ; 0x232dd
	.long	1937589359                      ; 0x737d446f
	.long	2016990596                      ; 0x7838d584
	;; [unrolled: 1-line block ×7, first 2 shown]
	.long	944363907                       ; 0x3849d983
	.long	2866279694                      ; 0xaad7f50e
	.long	1707163456                      ; 0x65c13f40
	;; [unrolled: 1-line block ×12, first 2 shown]
	.long	361099994                       ; 0x1585f2da
	.long	3566745727                      ; 0xd498387f
	.long	3658112707                      ; 0xda0a5ec3
	.long	934740227                       ; 0x37b70103
	.long	2684702277                      ; 0xa0054e45
	.long	2880928862                      ; 0xabb77c5e
	.long	2044313931                      ; 0x79d9c14b
	.long	1866044828                      ; 0x6f39959c
	.long	1814569183                      ; 0x6c2820df
	.long	130421713                       ; 0x7c613d1
	.long	2658878825                      ; 0x9e7b4569
	.long	1566180833                      ; 0x5d5a05e1
	;; [unrolled: 1-line block ×7, first 2 shown]
	.long	865634052                       ; 0x33988704
	.long	283642947                       ; 0x10e80c43
	.long	3389730171                      ; 0xca0b2d7b
	.long	3878969250                      ; 0xe7345fa2
	.long	107983959                       ; 0x66fb457
	.long	1601930856                      ; 0x5f7b8668
	.long	3698217362                      ; 0xdc6e5192
	;; [unrolled: 1-line block ×3, first 2 shown]
	.long	497511195                       ; 0x1da76b1b
	.long	720616881                       ; 0x2af3bdb1
	;; [unrolled: 1-line block ×3, first 2 shown]
	.long	2117385156                      ; 0x7e34bbc4
	.long	2656498433                      ; 0x9e56f301
	;; [unrolled: 1-line block ×8, first 2 shown]
	.long	282442925                       ; 0x10d5bcad
	.long	2418524976                      ; 0x9027c330
	.long	3489510655                      ; 0xcffdb4ff
	;; [unrolled: 1-line block ×6, first 2 shown]
	.long	885541635                       ; 0x34c84b03
	.long	4079341490                      ; 0xf325cfb2
	.long	1397656146                      ; 0x534e8a52
	;; [unrolled: 1-line block ×10, first 2 shown]
	.long	825853576                       ; 0x31398688
	.long	2476324234                      ; 0x9399b58a
	.long	3600148050                      ; 0xd695e652
	;; [unrolled: 1-line block ×3, first 2 shown]
	.long	5160254                         ; 0x4ebd3e
	.long	528751585                       ; 0x1f841be1
	.long	1339513738                      ; 0x4fd75b8a
	.long	447593731                       ; 0x1aadbd03
	.long	2742877256                      ; 0xa37cfc48
	.long	3033397497                      ; 0xb4cdf8f9
	.long	4025362081                      ; 0xefee26a1
	.long	808657962                       ; 0x3033242a
	.long	2422880287                      ; 0x906a381f
	.long	390864786                       ; 0x174c1f92
	.long	3191593886                      ; 0xbe3bdb9e
	.long	2682225618                      ; 0x9fdf83d2
	.long	353395922                       ; 0x151064d2
	.long	3577556262                      ; 0xd53d2d26
	.long	2482413928                      ; 0x93f6a168
	;; [unrolled: 1-line block ×13, first 2 shown]
	.long	607843308                       ; 0x243af3ec
	.long	3999302048                      ; 0xee6081a0
	.long	2761563885                      ; 0xa49a1eed
	;; [unrolled: 1-line block ×8, first 2 shown]
	.long	55140065                        ; 0x3495ee1
	.long	420486142                       ; 0x19101bfe
	.long	1314806730                      ; 0x4e5e5bca
	.long	932941454                       ; 0x379b8e8e
	.long	4276317539                      ; 0xfee36d63
	.long	1055315026                      ; 0x3ee6d452
	;; [unrolled: 1-line block ×9, first 2 shown]
	.long	530945117                       ; 0x1fa5945d
	.long	3165875131                      ; 0xbcb36bbb
	.long	2168411768                      ; 0x813f5678
	;; [unrolled: 1-line block ×8, first 2 shown]
	.long	619869608                       ; 0x24f275a8
	.long	4260458157                      ; 0xfdf16ead
	.long	2281748739                      ; 0x8800b903
	.long	98823023                        ; 0x5e3eb6f
	.long	1686790154                      ; 0x648a600a
	.long	3787481606                      ; 0xe1c06206
	.long	508630251                       ; 0x1e5114eb
	.long	3761850170                      ; 0xe039473a
	.long	2636025017                      ; 0x9d1e8cb9
	;; [unrolled: 1-line block ×6, first 2 shown]
	.long	978338993                       ; 0x3a5044b1
	.long	3066312306                      ; 0xb6c43672
	.long	3113171268                      ; 0xb98f3944
	.long	798494760                       ; 0x2f981028
	.long	2981622008                      ; 0xb1b7f0f8
	.long	2712384846                      ; 0xa1abb54e
	;; [unrolled: 1-line block ×4, first 2 shown]
	.long	992326282                       ; 0x3b25b28a
	.long	261645450                       ; 0xf98648a
	.long	66982935                        ; 0x3fe1417
	.long	3681154045                      ; 0xdb69f3fd
	.long	144093                          ; 0x232dd
	.long	1937589359                      ; 0x737d446f
	.long	2016990596                      ; 0x7838d584
	;; [unrolled: 1-line block ×12, first 2 shown]
	.long	913091437                       ; 0x366cab6d
	.long	3044280908                      ; 0xb5740a4c
	.long	3877442490                      ; 0xe71d13ba
	;; [unrolled: 1-line block ×7, first 2 shown]
	.long	361099994                       ; 0x1585f2da
	.long	3566745727                      ; 0xd498387f
	.long	2914687409                      ; 0xadba99b1
	.long	934740227                       ; 0x37b70103
	.long	2684702277                      ; 0xa0054e45
	.long	2880928862                      ; 0xabb77c5e
	;; [unrolled: 1-line block ×5, first 2 shown]
	.long	130421713                       ; 0x7c613d1
	.long	2658878825                      ; 0x9e7b4569
	.long	1566180833                      ; 0x5d5a05e1
	;; [unrolled: 1-line block ×7, first 2 shown]
	.long	287161774                       ; 0x111dbdae
	.long	283642947                       ; 0x10e80c43
	.long	3389730171                      ; 0xca0b2d7b
	.long	3878969250                      ; 0xe7345fa2
	.long	107983959                       ; 0x66fb457
	.long	3057929912                      ; 0xb6444eb8
	.long	3698217362                      ; 0xdc6e5192
	;; [unrolled: 1-line block ×3, first 2 shown]
	.long	497511195                       ; 0x1da76b1b
	.long	720616881                       ; 0x2af3bdb1
	.long	3570251850                      ; 0xd4cdb84a
	.long	2117385156                      ; 0x7e34bbc4
	;; [unrolled: 1-line block ×9, first 2 shown]
	.long	282442925                       ; 0x10d5bcad
	.long	2510419746                      ; 0x95a1f722
	.long	3489510655                      ; 0xcffdb4ff
	.long	2942944206                      ; 0xaf69c3ce
	.long	2072047145                      ; 0x7b80ee29
	.long	2985823503                      ; 0xb1f80d0f
	.long	978430777                       ; 0x3a51ab39
	.long	885541635                       ; 0x34c84b03
	.long	4079341490                      ; 0xf325cfb2
	.long	1397656146                      ; 0x534e8a52
	;; [unrolled: 1-line block ×3, first 2 shown]
	.long	134380865                       ; 0x8027d41
	.long	1049969755                      ; 0x3e95445b
	.long	3991197972                      ; 0xede4d914
	;; [unrolled: 1-line block ×6, first 2 shown]
	.long	825853576                       ; 0x31398688
	.long	2476324234                      ; 0x9399b58a
	.long	3600148050                      ; 0xd695e652
	.long	228461601                       ; 0xd9e0c21
	.long	5160254                         ; 0x4ebd3e
	.long	528751585                       ; 0x1f841be1
	.long	1339513738                      ; 0x4fd75b8a
	.long	447593731                       ; 0x1aadbd03
	.long	2852356745                      ; 0xaa038289
	.long	3033397497                      ; 0xb4cdf8f9
	;; [unrolled: 1-line block ×3, first 2 shown]
	.long	808657962                       ; 0x3033242a
	.long	2422880287                      ; 0x906a381f
	.long	3287655095                      ; 0xc3f5a2b7
	;; [unrolled: 1-line block ×4, first 2 shown]
	.long	353395922                       ; 0x151064d2
	.long	3577556262                      ; 0xd53d2d26
	.long	2542841784                      ; 0x9790afb8
	;; [unrolled: 1-line block ×13, first 2 shown]
	.long	607843308                       ; 0x243af3ec
	.long	3999302048                      ; 0xee6081a0
	.long	2761563885                      ; 0xa49a1eed
	;; [unrolled: 1-line block ×8, first 2 shown]
	.long	55140065                        ; 0x3495ee1
	.long	420486142                       ; 0x19101bfe
	.long	1314806730                      ; 0x4e5e5bca
	.long	932941454                       ; 0x379b8e8e
	.long	2708752494                      ; 0xa174486e
	.long	1055315026                      ; 0x3ee6d452
	;; [unrolled: 1-line block ×5, first 2 shown]
	.long	962728637                       ; 0x396212bd
	.long	4174985470                      ; 0xf8d938fe
	.long	2351652097                      ; 0x8c2b5d01
	;; [unrolled: 1-line block ×3, first 2 shown]
	.long	530945117                       ; 0x1fa5945d
	.long	3370859357                      ; 0xc8eb3b5d
	.long	2168411768                      ; 0x813f5678
	;; [unrolled: 1-line block ×8, first 2 shown]
	.long	619869608                       ; 0x24f275a8
	.long	4260458157                      ; 0xfdf16ead
	.long	199178828                       ; 0xbdf3a4c
	.long	98823023                        ; 0x5e3eb6f
	.long	1686790154                      ; 0x648a600a
	.long	3787481606                      ; 0xe1c06206
	.long	508630251                       ; 0x1e5114eb
	.long	4205010983                      ; 0xfaa36027
	.long	2636025017                      ; 0x9d1e8cb9
	;; [unrolled: 1-line block ×5, first 2 shown]
	.long	683127445                       ; 0x28b7b295
	.long	978338993                       ; 0x3a5044b1
	.long	3066312306                      ; 0xb6c43672
	.long	3113171268                      ; 0xb98f3944
	.long	798494760                       ; 0x2f981028
	.long	2823693013                      ; 0xa84e22d5
	.long	2712384846                      ; 0xa1abb54e
	;; [unrolled: 1-line block ×4, first 2 shown]
	.long	992326282                       ; 0x3b25b28a
	.long	3701928286                      ; 0xdca6f15e
	.long	66982935                        ; 0x3fe1417
	.long	3681154045                      ; 0xdb69f3fd
	.long	144093                          ; 0x232dd
	.long	1937589359                      ; 0x737d446f
	.long	1117717039                      ; 0x429f022f
	;; [unrolled: 1-line block ×12, first 2 shown]
	.long	913091437                       ; 0x366cab6d
	.long	3044280908                      ; 0xb5740a4c
	.long	3877442490                      ; 0xe71d13ba
	;; [unrolled: 1-line block ×7, first 2 shown]
	.long	361099994                       ; 0x1585f2da
	.long	3771108073                      ; 0xe0c68ae9
	.long	2914687409                      ; 0xadba99b1
	.long	934740227                       ; 0x37b70103
	.long	2684702277                      ; 0xa0054e45
	.long	2880928862                      ; 0xabb77c5e
	.long	3591322975                      ; 0xd60f3d5f
	.long	1515195925                      ; 0x5a500e15
	.long	1814569183                      ; 0x6c2820df
	.long	130421713                       ; 0x7c613d1
	.long	2658878825                      ; 0x9e7b4569
	.long	354587729                       ; 0x15229451
	.long	2753417020                      ; 0xa41dcf3c
	.long	1784679035                      ; 0x6a600a7b
	;; [unrolled: 1-line block ×5, first 2 shown]
	.long	287161774                       ; 0x111dbdae
	.long	283642947                       ; 0x10e80c43
	.long	3389730171                      ; 0xca0b2d7b
	.long	3878969250                      ; 0xe7345fa2
	;; [unrolled: 1-line block ×6, first 2 shown]
	.long	497511195                       ; 0x1da76b1b
	.long	3121882901                      ; 0xba142715
	.long	426537369                       ; 0x196c7199
	.long	3852284416                      ; 0xe59d3200
	.long	4050544256                      ; 0xf16e6680
	;; [unrolled: 1-line block ×3, first 2 shown]
	.long	878474231                       ; 0x345c73f7
	.long	1369575859                      ; 0x51a211b3
	.long	2206199765                      ; 0x837fefd5
	.long	870626886                       ; 0x33e4b646
	.long	494668165                       ; 0x1d7c0985
	;; [unrolled: 1-line block ×3, first 2 shown]
	.long	3246772867                      ; 0xc185d283
	.long	1040178461                      ; 0x3dffdd1d
	;; [unrolled: 1-line block ×4, first 2 shown]
	.long	456758967                       ; 0x1b3996b7
	.long	4134137960                      ; 0xf669f068
	.long	3525051481                      ; 0xd21c0459
	;; [unrolled: 1-line block ×10, first 2 shown]
	.long	42139718                        ; 0x2830046
	.long	4212208866                      ; 0xfb1134e2
	.long	3874761488                      ; 0xe6f42b10
	;; [unrolled: 1-line block ×4, first 2 shown]
	.long	864533345                       ; 0x3387bb61
	.long	474524842                       ; 0x1c48acaa
	.long	2283847731                      ; 0x8820c033
	.long	283971243                       ; 0x10ed0eab
	.long	3607219686                      ; 0xd701cde6
	;; [unrolled: 2-line block ×4, first 2 shown]
	.long	4252134362                      ; 0xfd726bda
	.long	922033031                       ; 0x36f51b87
	.long	3615474721                      ; 0xd77fc421
	.long	1691563300                      ; 0x64d33524
	;; [unrolled: 1-line block ×5, first 2 shown]
	.long	752654714                       ; 0x2cdc997a
	.long	4188343161                      ; 0xf9a50b79
	.long	305594960                       ; 0x12370250
	.long	1320443323                      ; 0x4eb45dbb
	;; [unrolled: 2-line block ×3, first 2 shown]
	.long	3608843538                      ; 0xd71a9512
	.long	2717312892                      ; 0xa1f6e77c
	;; [unrolled: 1-line block ×4, first 2 shown]
	.long	823626340                       ; 0x31178a64
	.long	2244853583                      ; 0x85cdbf4f
	.long	2648217758                      ; 0x9dd8989e
	.long	141742826                       ; 0x872d2ea
	.long	1605436472                      ; 0x5fb10438
	.long	745763543                       ; 0x2c7372d7
	.long	3275460028                      ; 0xc33b8dbc
	.long	3166960370                      ; 0xbcc3faf2
	;; [unrolled: 1-line block ×4, first 2 shown]
	.long	945054703                       ; 0x385463ef
	.long	998173049                       ; 0x3b7ee979
	.long	1014527437                      ; 0x3c7875cd
	.long	3424443612                      ; 0xcc1cdcdc
	.long	281835352                       ; 0x10cc7758
	.long	826817508                       ; 0x31483be4
	.long	260462513                       ; 0xf8657b1
	.long	2849967970                      ; 0xa9df0f62
	.long	3447294061                      ; 0xcd79886d
	;; [unrolled: 1-line block ×13, first 2 shown]
	.long	440045928                       ; 0x1a3a9168
	.long	1230555006                      ; 0x4958c77e
	.long	980805434                       ; 0x3a75e73a
	.long	2107958250                      ; 0x7da4e3ea
	;; [unrolled: 2-line block ×3, first 2 shown]
	.long	4283672024                      ; 0xff53a5d8
	.long	193019043                       ; 0xb813ca3
	.long	786035243                       ; 0x2ed9f22b
	.long	3002832578                      ; 0xb2fb96c2
	.long	3938336183                      ; 0xeabe3db7
	.long	4209865002                      ; 0xfaed712a
	.long	1005950967                      ; 0x3bf597f7
	.long	3533346582                      ; 0xd29a9716
	.long	3196886974                      ; 0xbe8c9fbe
	.long	83962845                        ; 0x5012bdd
	.long	1882902787                      ; 0x703ad103
	.long	3595687446                      ; 0xd651d616
	;; [unrolled: 1-line block ×9, first 2 shown]
	.long	538294991                       ; 0x2015bacf
	.long	353565565                       ; 0x1512fb7d
	.long	18133995                        ; 0x114b3eb
	.long	1719731406                      ; 0x668104ce
	.long	3311085516                      ; 0xc55b27cc
	;; [unrolled: 1-line block ×3, first 2 shown]
	.long	300367686                       ; 0x11e73f46
	.long	2628312935                      ; 0x9ca8df67
	.long	1151449661                      ; 0x44a1ba3d
	.long	2178805970                      ; 0x81ddf0d2
	.long	3288321196                      ; 0xc3ffccac
	.long	535051857                       ; 0x1fe43e51
	.long	1623270973                      ; 0x60c1263d
	.long	2761151808                      ; 0xa493d540
	;; [unrolled: 1-line block ×3, first 2 shown]
	.long	317681607                       ; 0x12ef6fc7
	.long	2281427601                      ; 0x87fbd291
	.long	719748170                       ; 0x2ae67c4a
	.long	351452298                       ; 0x14f2bc8a
	.long	2191958596                      ; 0x82a6a244
	.long	4000232015                      ; 0xee6eb24f
	.long	335837771                       ; 0x14047a4b
	.long	4158081521                      ; 0xf7d749f1
	.long	3779404077                      ; 0xe145212d
	;; [unrolled: 1-line block ×7, first 2 shown]
	.long	748423654                       ; 0x2c9c09e6
	.long	1993082867                      ; 0x76cc07f3
	.long	451159852                       ; 0x1ae4272c
	.long	488781053                       ; 0x1d2234fd
	.long	2438982775                      ; 0x915fec77
	.long	2222815270                      ; 0x847d7826
	.long	543209242                       ; 0x2060b71a
	.long	1241562465                      ; 0x4a00bd61
	.long	2868868009                      ; 0xaaff73a9
	;; [unrolled: 1-line block ×11, first 2 shown]
	.long	705615044                       ; 0x2a0ed4c4
	.long	973368008                       ; 0x3a046ac8
	.long	1221885324                      ; 0x48d47d8c
	.long	2086331970                      ; 0x7c5ae642
	;; [unrolled: 1-line block ×3, first 2 shown]
	.long	280145759                       ; 0x10b2af5f
	.long	1795442656                      ; 0x6b0447e0
	.long	2984366093                      ; 0xb1e1d00d
	;; [unrolled: 1-line block ×3, first 2 shown]
	.long	323888669                       ; 0x134e261d
	.long	851950179                       ; 0x32c7ba63
	.long	4198638255                      ; 0xfa4222af
	.long	899943985                       ; 0x35a40e31
	.long	4087912561                      ; 0xf3a89871
	.long	2935341503                      ; 0xaef5c1bf
	.long	1443752852                      ; 0x560deb94
	.long	3991058999                      ; 0xede2ba37
	.long	3547259355                      ; 0xd36ee1db
	.long	35779889                        ; 0x221f531
	.long	1076308344                      ; 0x40272978
	.long	4075444807                      ; 0xf2ea5a47
	.long	186174448                       ; 0xb18cbf0
	.long	3542284780                      ; 0xd322f9ec
	.long	660388677                       ; 0x275cbb45
	.long	2777400132                      ; 0xa58bc344
	.long	1092226205                      ; 0x411a0c9d
	;; [unrolled: 1-line block ×7, first 2 shown]
	.long	387339882                       ; 0x1716566a
	.long	2969593895                      ; 0xb1006827
	.long	3453134349                      ; 0xcdd2a60d
	;; [unrolled: 1-line block ×8, first 2 shown]
	.long	582454582                       ; 0x22b78d36
	.long	3364657275                      ; 0xc88c987b
	.long	3466973302                      ; 0xcea5d076
	.long	484564303                       ; 0x1ce1dd4f
	.long	1489261596                      ; 0x58c4541c
	.long	2270291560                      ; 0x8751e668
	;; [unrolled: 1-line block ×5, first 2 shown]
	.long	644797709                       ; 0x266ed50d
	.long	1213921542                      ; 0x485af906
	.long	99331403                        ; 0x5ebad4b
	.long	3027640949                      ; 0xb4762275
	.long	1137722852                      ; 0x43d045e4
	;; [unrolled: 1-line block ×4, first 2 shown]
	.long	931795812                       ; 0x378a1364
	.long	1075567424                      ; 0x401bdb40
	.long	28963219                        ; 0x1b9f193
	.long	1462245461                      ; 0x57281855
	.long	3781444706                      ; 0xe1644462
	.long	521233400                       ; 0x1f1163f8
	.long	1891915904                      ; 0x70c45880
	.long	3774338085                      ; 0xe0f7d425
	.long	1635359313                      ; 0x61799a51
	.long	2356111795                      ; 0x8c6f69b3
	.long	4121073768                      ; 0xf5a29868
	.long	1045110727                      ; 0x3e4b1fc7
	.long	2822507066                      ; 0xa83c0a3a
	.long	1087914587                      ; 0x40d8425b
	.long	3744509525                      ; 0xdf30ae55
	.long	911370656                       ; 0x365269a0
	.long	181884066                       ; 0xad754a2
	.long	1944539735                      ; 0x73e75257
	.long	290356444                       ; 0x114e7cdc
	.long	3598887471                      ; 0xd682aa2f
	.long	4236934380                      ; 0xfc8a7cec
	;; [unrolled: 1-line block ×3, first 2 shown]
	.long	457546246                       ; 0x1b459a06
	.long	4119337570                      ; 0xf5881a62
	.long	37700432                        ; 0x23f4350
	.long	655783844                       ; 0x271677a4
	.long	1423101410                      ; 0x54d2cde2
	.long	1693002969                      ; 0x64e92cd9
	;; [unrolled: 1-line block ×3, first 2 shown]
	.long	928748421                       ; 0x375b9385
	.long	4074128009                      ; 0xf2d64289
	.long	3081088543                      ; 0xb7a5ae1f
	;; [unrolled: 1-line block ×7, first 2 shown]
	.long	794709427                       ; 0x2f5e4db3
	.long	3363292346                      ; 0xc877c4ba
	.long	67786868                        ; 0x40a5874
	.long	3786597763                      ; 0xe1b2e583
	.long	380587236                       ; 0x16af4ce4
	.long	2345941620                      ; 0x8bd43a74
	.long	560232318                       ; 0x2164777e
	;; [unrolled: 2-line block ×3, first 2 shown]
	.long	1050293267                      ; 0x3e9a3413
	.long	2537845069                      ; 0x9744714d
	;; [unrolled: 1-line block ×3, first 2 shown]
	.long	433399526                       ; 0x19d526e6
	.long	1083185007                      ; 0x4090176f
	.long	1893842085                      ; 0x70e1bca5
	;; [unrolled: 1-line block ×9, first 2 shown]
	.long	215905995                       ; 0xcde76cb
	.long	155811669                       ; 0x9497f55
	;; [unrolled: 1-line block ×3, first 2 shown]
	.long	2732631168                      ; 0xa2e0a480
	.long	1621659281                      ; 0x60a88e91
	.long	632403616                       ; 0x25b1b6a0
	.long	401165422                       ; 0x17e94c6e
	.long	2661074778                      ; 0x9e9cc75a
	.long	4156963191                      ; 0xf7c63977
	.long	3691812937                      ; 0xdc0c9849
	.long	3767271627                      ; 0xe08c00cb
	.long	2834948318                      ; 0xa8f9e0de
	.long	2877210497                      ; 0xab7ebf81
	.long	2420260153                      ; 0x90423d39
	.long	733172233                       ; 0x2bb35209
	.long	1771708940                      ; 0x699a220c
	.long	3102718549                      ; 0xb8efba55
	.long	2468707423                      ; 0x93257c5f
	.long	1857088312                      ; 0x6eb0eb38
	.long	3176535032                      ; 0xbd5613f8
	.long	1908570295                      ; 0x71c278b7
	.long	3966666208                      ; 0xec6e85e0
	;; [unrolled: 8-line block ×3, first 2 shown]
	.long	4049610348                      ; 0xf160266c
	.long	615820785                       ; 0x24b4adf1
	.long	3355718142                      ; 0xc80431fe
	.long	1734641780                      ; 0x67648874
	;; [unrolled: 1-line block ×3, first 2 shown]
	.long	274522187                       ; 0x105ce04b
	.long	3198436002                      ; 0xbea442a2
	.long	4077346785                      ; 0xf3075fe1
	;; [unrolled: 1-line block ×5, first 2 shown]
	.long	96583076                        ; 0x5c1bda4
	.long	2656389382                      ; 0x9e554906
	.long	1858181040                      ; 0x6ec197b0
	;; [unrolled: 1-line block ×4, first 2 shown]
	.long	349324012                       ; 0x14d242ec
	.long	973368008                       ; 0x3a046ac8
	.long	1221885324                      ; 0x48d47d8c
	.long	2086331970                      ; 0x7c5ae642
	;; [unrolled: 1-line block ×3, first 2 shown]
	.long	253685576                       ; 0xf1eef48
	.long	1795442656                      ; 0x6b0447e0
	.long	2984366093                      ; 0xb1e1d00d
	;; [unrolled: 1-line block ×3, first 2 shown]
	.long	323888669                       ; 0x134e261d
	.long	248935329                       ; 0xed673a1
	.long	4198638255                      ; 0xfa4222af
	.long	899943985                       ; 0x35a40e31
	.long	4087912561                      ; 0xf3a89871
	.long	2935341503                      ; 0xaef5c1bf
	;; [unrolled: 1-line block ×5, first 2 shown]
	.long	35779889                        ; 0x221f531
	.long	1076308344                      ; 0x40272978
	.long	1987715385                      ; 0x767a2139
	.long	186174448                       ; 0xb18cbf0
	.long	3542284780                      ; 0xd322f9ec
	.long	660388677                       ; 0x275cbb45
	.long	2777400132                      ; 0xa58bc344
	.long	2071022105                      ; 0x7b714a19
	;; [unrolled: 1-line block ×6, first 2 shown]
	.long	144370664                       ; 0x89aebe8
	.long	387339882                       ; 0x1716566a
	.long	2969593895                      ; 0xb1006827
	.long	3453134349                      ; 0xcdd2a60d
	;; [unrolled: 1-line block ×11, first 2 shown]
	.long	484564303                       ; 0x1ce1dd4f
	.long	1489261596                      ; 0x58c4541c
	.long	3405101812                      ; 0xcaf5baf4
	;; [unrolled: 1-line block ×5, first 2 shown]
	.long	644797709                       ; 0x266ed50d
	.long	2560273821                      ; 0x989aad9d
	.long	99331403                        ; 0x5ebad4b
	.long	3027640949                      ; 0xb4762275
	.long	1137722852                      ; 0x43d045e4
	;; [unrolled: 1-line block ×4, first 2 shown]
	.long	931795812                       ; 0x378a1364
	.long	1075567424                      ; 0x401bdb40
	.long	28963219                        ; 0x1b9f193
	.long	1462245461                      ; 0x57281855
	.long	1201513613                      ; 0x479da48d
	.long	521233400                       ; 0x1f1163f8
	.long	1891915904                      ; 0x70c45880
	.long	3774338085                      ; 0xe0f7d425
	;; [unrolled: 1-line block ×9, first 2 shown]
	.long	911370656                       ; 0x365269a0
	.long	181884066                       ; 0xad754a2
	.long	1944539735                      ; 0x73e75257
	.long	290356444                       ; 0x114e7cdc
	.long	2078819341                      ; 0x7be8440d
	.long	4236934380                      ; 0xfc8a7cec
	.long	3224468239                      ; 0xc0317b0f
	.long	457546246                       ; 0x1b459a06
	.long	4119337570                      ; 0xf5881a62
	.long	2666895496                      ; 0x9ef59888
	.long	655783844                       ; 0x271677a4
	.long	1423101410                      ; 0x54d2cde2
	.long	1693002969                      ; 0x64e92cd9
	;; [unrolled: 1-line block ×8, first 2 shown]
	.long	872453917                       ; 0x3400971d
	.long	2388253717                      ; 0x8e59dc15
	.long	4173455215                      ; 0xf8c1df6f
	.long	794709427                       ; 0x2f5e4db3
	.long	3363292346                      ; 0xc877c4ba
	.long	4188764388                      ; 0xf9ab78e4
	;; [unrolled: 1-line block ×3, first 2 shown]
	.long	380587236                       ; 0x16af4ce4
	.long	2345941620                      ; 0x8bd43a74
	.long	560232318                       ; 0x2164777e
	.long	625538006                       ; 0x2548f3d6
	;; [unrolled: 1-line block ×3, first 2 shown]
	.long	1050293267                      ; 0x3e9a3413
	.long	2537845069                      ; 0x9744714d
	;; [unrolled: 1-line block ×13, first 2 shown]
	.long	928582681                       ; 0x37590c19
	.long	155811669                       ; 0x9497f55
	;; [unrolled: 1-line block ×3, first 2 shown]
	.long	2732631168                      ; 0xa2e0a480
	.long	1621659281                      ; 0x60a88e91
	;; [unrolled: 1-line block ×3, first 2 shown]
	.long	401165422                       ; 0x17e94c6e
	.long	2661074778                      ; 0x9e9cc75a
	.long	4156963191                      ; 0xf7c63977
	;; [unrolled: 1-line block ×7, first 2 shown]
	.long	733172233                       ; 0x2bb35209
	.long	170239236                       ; 0xa25a504
	.long	3102718549                      ; 0xb8efba55
	.long	2468707423                      ; 0x93257c5f
	.long	1857088312                      ; 0x6eb0eb38
	.long	3176535032                      ; 0xbd5613f8
	.long	3868693408                      ; 0xe69793a0
	.long	3966666208                      ; 0xec6e85e0
	.long	605079895                       ; 0x2410c957
	.long	2982506620                      ; 0xb1c5707c
	.long	3721694730                      ; 0xddd48e0a
	;; [unrolled: 1-line block ×8, first 2 shown]
	.long	615820785                       ; 0x24b4adf1
	.long	3355718142                      ; 0xc80431fe
	.long	1734641780                      ; 0x67648874
	;; [unrolled: 1-line block ×9, first 2 shown]
	.long	96583076                        ; 0x5c1bda4
	.long	2656389382                      ; 0x9e554906
	.long	1858181040                      ; 0x6ec197b0
	;; [unrolled: 1-line block ×4, first 2 shown]
	.long	349324012                       ; 0x14d242ec
	.long	973368008                       ; 0x3a046ac8
	.long	1221885324                      ; 0x48d47d8c
	.long	2086331970                      ; 0x7c5ae642
	;; [unrolled: 1-line block ×3, first 2 shown]
	.long	253685576                       ; 0xf1eef48
	.long	1795442656                      ; 0x6b0447e0
	.long	2984366093                      ; 0xb1e1d00d
	;; [unrolled: 1-line block ×4, first 2 shown]
	.long	248935329                       ; 0xed673a1
	.long	4198638255                      ; 0xfa4222af
	.long	899943985                       ; 0x35a40e31
	.long	4087912561                      ; 0xf3a89871
	;; [unrolled: 2-line block ×3, first 2 shown]
	.long	3991058999                      ; 0xede2ba37
	.long	3547259355                      ; 0xd36ee1db
	.long	35779889                        ; 0x221f531
	.long	2393072396                      ; 0x8ea3630c
	.long	1987715385                      ; 0x767a2139
	.long	186174448                       ; 0xb18cbf0
	.long	3542284780                      ; 0xd322f9ec
	.long	660388677                       ; 0x275cbb45
	.long	3731857267                      ; 0xde6f9f73
	.long	2071022105                      ; 0x7b714a19
	;; [unrolled: 1-line block ×6, first 2 shown]
	.long	144370664                       ; 0x89aebe8
	.long	387339882                       ; 0x1716566a
	.long	2969593895                      ; 0xb1006827
	.long	3453134349                      ; 0xcdd2a60d
	;; [unrolled: 1-line block ×11, first 2 shown]
	.long	484564303                       ; 0x1ce1dd4f
	.long	2234542580                      ; 0x853069f4
	.long	3405101812                      ; 0xcaf5baf4
	;; [unrolled: 1-line block ×7, first 2 shown]
	.long	99331403                        ; 0x5ebad4b
	.long	3027640949                      ; 0xb4762275
	.long	1137722852                      ; 0x43d045e4
	;; [unrolled: 1-line block ×4, first 2 shown]
	.long	931795812                       ; 0x378a1364
	.long	1075567424                      ; 0x401bdb40
	.long	28963219                        ; 0x1b9f193
	.long	1659632304                      ; 0x62ebfab0
	.long	1201513613                      ; 0x479da48d
	.long	521233400                       ; 0x1f1163f8
	.long	1891915904                      ; 0x70c45880
	.long	3774338085                      ; 0xe0f7d425
	.long	763590809                       ; 0x2d837899
	.long	2815447944                      ; 0xa7d05388
	.long	4121073768                      ; 0xf5a29868
	;; [unrolled: 1-line block ×6, first 2 shown]
	.long	911370656                       ; 0x365269a0
	.long	181884066                       ; 0xad754a2
	.long	1944539735                      ; 0x73e75257
	.long	4104473807                      ; 0xf4a54ccf
	;; [unrolled: 1-line block ×5, first 2 shown]
	.long	457546246                       ; 0x1b459a06
	.long	1241850776                      ; 0x4a052398
	.long	2666895496                      ; 0x9ef59888
	.long	655783844                       ; 0x271677a4
	.long	1423101410                      ; 0x54d2cde2
	.long	1693002969                      ; 0x64e92cd9
	;; [unrolled: 1-line block ×7, first 2 shown]
	.long	218474476                       ; 0xd05a7ec
	.long	872453917                       ; 0x3400971d
	.long	2388253717                      ; 0x8e59dc15
	.long	4173455215                      ; 0xf8c1df6f
	.long	794709427                       ; 0x2f5e4db3
	.long	250328312                       ; 0xeebb4f8
	.long	4188764388                      ; 0xf9ab78e4
	.long	3786597763                      ; 0xe1b2e583
	.long	380587236                       ; 0x16af4ce4
	.long	2345941620                      ; 0x8bd43a74
	.long	1937652040                      ; 0x737e3948
	.long	625538006                       ; 0x2548f3d6
	.long	619747082                       ; 0x24f0970a
	.long	1050293267                      ; 0x3e9a3413
	.long	2537845069                      ; 0x9744714d
	;; [unrolled: 1-line block ×13, first 2 shown]
	.long	928582681                       ; 0x37590c19
	.long	155811669                       ; 0x9497f55
	;; [unrolled: 1-line block ×3, first 2 shown]
	.long	2732631168                      ; 0xa2e0a480
	.long	4046198728                      ; 0xf12c17c8
	;; [unrolled: 1-line block ×3, first 2 shown]
	.long	401165422                       ; 0x17e94c6e
	.long	2661074778                      ; 0x9e9cc75a
	.long	4156963191                      ; 0xf7c63977
	;; [unrolled: 1-line block ×7, first 2 shown]
	.long	326741418                       ; 0x1379adaa
	.long	170239236                       ; 0xa25a504
	.long	3102718549                      ; 0xb8efba55
	.long	2468707423                      ; 0x93257c5f
	;; [unrolled: 1-line block ×6, first 2 shown]
	.long	605079895                       ; 0x2410c957
	.long	2982506620                      ; 0xb1c5707c
	.long	2354705582                      ; 0x8c59f4ae
	;; [unrolled: 1-line block ×8, first 2 shown]
	.long	615820785                       ; 0x24b4adf1
	.long	3355718142                      ; 0xc80431fe
	.long	1734641780                      ; 0x67648874
	;; [unrolled: 1-line block ×7, first 2 shown]
	.long	416470693                       ; 0x18d2d6a5
	.long	2612861218                      ; 0x9bbd1922
	.long	96583076                        ; 0x5c1bda4
	.long	2656389382                      ; 0x9e554906
	.long	1858181040                      ; 0x6ec197b0
	;; [unrolled: 1-line block ×4, first 2 shown]
	.long	349324012                       ; 0x14d242ec
	.long	973368008                       ; 0x3a046ac8
	.long	1221885324                      ; 0x48d47d8c
	.long	601524567                       ; 0x23da8957
	.long	2258432445                      ; 0x869cf1bd
	;; [unrolled: 2-line block ×3, first 2 shown]
	.long	2984366093                      ; 0xb1e1d00d
	.long	1875491903                      ; 0x6fc9bc3f
	;; [unrolled: 1-line block ×3, first 2 shown]
	.long	248935329                       ; 0xed673a1
	.long	4198638255                      ; 0xfa4222af
	.long	899943985                       ; 0x35a40e31
	.long	2182697927                      ; 0x821953c7
	;; [unrolled: 2-line block ×3, first 2 shown]
	.long	3991058999                      ; 0xede2ba37
	.long	3547259355                      ; 0xd36ee1db
	;; [unrolled: 1-line block ×5, first 2 shown]
	.long	186174448                       ; 0xb18cbf0
	.long	3542284780                      ; 0xd322f9ec
	.long	2160848139                      ; 0x80cbed0b
	;; [unrolled: 1-line block ×8, first 2 shown]
	.long	144370664                       ; 0x89aebe8
	.long	387339882                       ; 0x1716566a
	.long	2969593895                      ; 0xb1006827
	.long	4240850623                      ; 0xfcc63ebf
	;; [unrolled: 1-line block ×6, first 2 shown]
	.long	322523795                       ; 0x13395293
	.long	2907069566                      ; 0xad465c7e
	.long	4064263898                      ; 0xf23fbeda
	;; [unrolled: 1-line block ×12, first 2 shown]
	.long	99331403                        ; 0x5ebad4b
	.long	3027640949                      ; 0xb4762275
	.long	859541953                       ; 0x333b91c1
	.long	4200786664                      ; 0xfa62eae8
	.long	1446442417                      ; 0x5636f5b1
	.long	931795812                       ; 0x378a1364
	.long	1075567424                      ; 0x401bdb40
	.long	1876635772                      ; 0x6fdb307c
	;; [unrolled: 1-line block ×4, first 2 shown]
	.long	521233400                       ; 0x1f1163f8
	.long	1891915904                      ; 0x70c45880
	.long	3949233865                      ; 0xeb6486c9
	.long	763590809                       ; 0x2d837899
	.long	2815447944                      ; 0xa7d05388
	.long	4121073768                      ; 0xf5a29868
	;; [unrolled: 1-line block ×6, first 2 shown]
	.long	911370656                       ; 0x365269a0
	.long	181884066                       ; 0xad754a2
	.long	2467886009                      ; 0x9318f3b9
	.long	4104473807                      ; 0xf4a54ccf
	;; [unrolled: 1-line block ×5, first 2 shown]
	.long	603014155                       ; 0x23f1440b
	.long	1241850776                      ; 0x4a052398
	.long	2666895496                      ; 0x9ef59888
	.long	655783844                       ; 0x271677a4
	.long	1423101410                      ; 0x54d2cde2
	.long	673119756                       ; 0x281efe0c
	.long	2025898966                      ; 0x78c0c3d6
	.long	3595439673                      ; 0xd64e0e39
	;; [unrolled: 1-line block ×5, first 2 shown]
	.long	218474476                       ; 0xd05a7ec
	.long	872453917                       ; 0x3400971d
	.long	2388253717                      ; 0x8e59dc15
	.long	4173455215                      ; 0xf8c1df6f
	;; [unrolled: 1-line block ×3, first 2 shown]
	.long	250328312                       ; 0xeebb4f8
	.long	4188764388                      ; 0xf9ab78e4
	.long	3786597763                      ; 0xe1b2e583
	.long	380587236                       ; 0x16af4ce4
	.long	4292608797                      ; 0xffdc031d
	.long	1937652040                      ; 0x737e3948
	.long	625538006                       ; 0x2548f3d6
	.long	619747082                       ; 0x24f0970a
	.long	1050293267                      ; 0x3e9a3413
	.long	2989616803                      ; 0xb231eea3
	;; [unrolled: 1-line block ×13, first 2 shown]
	.long	928582681                       ; 0x37590c19
	.long	155811669                       ; 0x9497f55
	;; [unrolled: 1-line block ×3, first 2 shown]
	.long	2864892828                      ; 0xaac2cb9c
	.long	4046198728                      ; 0xf12c17c8
	;; [unrolled: 1-line block ×3, first 2 shown]
	.long	401165422                       ; 0x17e94c6e
	.long	2661074778                      ; 0x9e9cc75a
	.long	2946769376                      ; 0xafa421e0
	;; [unrolled: 1-line block ×7, first 2 shown]
	.long	326741418                       ; 0x1379adaa
	.long	170239236                       ; 0xa25a504
	.long	3102718549                      ; 0xb8efba55
	.long	2468707423                      ; 0x93257c5f
	;; [unrolled: 1-line block ×6, first 2 shown]
	.long	605079895                       ; 0x2410c957
	.long	2949706551                      ; 0xafd0f337
	.long	2354705582                      ; 0x8c59f4ae
	;; [unrolled: 1-line block ×5, first 2 shown]
	.long	495003693                       ; 0x1d81282d
	.long	3017501686                      ; 0xb3db6bf6
	.long	2964604045                      ; 0xb0b4448d
	.long	615820785                       ; 0x24b4adf1
	.long	3355718142                      ; 0xc80431fe
	.long	3799230297                      ; 0xe273a759
	;; [unrolled: 1-line block ×6, first 2 shown]
	.long	258363842                       ; 0xf6651c2
	.long	416470693                       ; 0x18d2d6a5
	.long	2612861218                      ; 0x9bbd1922
	.long	96583076                        ; 0x5c1bda4
	.long	2656389382                      ; 0x9e554906
	.long	2198085634                      ; 0x83042002
	;; [unrolled: 1-line block ×3, first 2 shown]
	.long	694172175                       ; 0x29603a0f
	.long	4194347563                      ; 0xfa00aa2b
	.long	2665732891                      ; 0x9ee3db1b
	;; [unrolled: 1-line block ×3, first 2 shown]
	.long	597070176                       ; 0x23969160
	.long	2749480905                      ; 0xa3e1bfc9
	.long	3937535348                      ; 0xeab20574
	.long	3639873850                      ; 0xd8f4113a
	.long	2050067843                      ; 0x7a318d83
	.long	4045290683                      ; 0xf11e3cbb
	.long	2964298196                      ; 0xb0af99d4
	.long	3631595287                      ; 0xd875bf17
	.long	1409808193                      ; 0x5407f741
	.long	121765438                       ; 0x741fe3e
	.long	2129412744                      ; 0x7eec4288
	.long	2497437101                      ; 0x94dbddad
	;; [unrolled: 1-line block ×10, first 2 shown]
	.long	116121364                       ; 0x6ebdf14
	.long	1179473397                      ; 0x464d55f5
	.long	1497519022                      ; 0x594253ae
	.long	902569114                       ; 0x35cc1c9a
	.long	3840281863                      ; 0xe4e60d07
	.long	2783662797                      ; 0xa5eb52cd
	;; [unrolled: 1-line block ×8, first 2 shown]
	.long	446484563                       ; 0x1a9cd053
	.long	1133869192                      ; 0x43957888
	.long	2622178726                      ; 0x9c4b45a6
	;; [unrolled: 1-line block ×4, first 2 shown]
	.long	391734322                       ; 0x17596432
	.long	2089696890                      ; 0x7c8e3e7a
	.long	1304197030                      ; 0x4dbc77a6
	;; [unrolled: 1-line block ×5, first 2 shown]
	.long	448351665                       ; 0x1ab94db1
	.long	2724524045                      ; 0xa264f00d
	.long	1038754164                      ; 0x3dea2174
	.long	413586547                       ; 0x18a6d473
	.long	3107681687                      ; 0xb93b7597
	.long	1454664365                      ; 0x56b46aad
	;; [unrolled: 1-line block ×3, first 2 shown]
	.long	128440996                       ; 0x7a7daa4
	.long	565817989                       ; 0x21b9b285
	;; [unrolled: 1-line block ×3, first 2 shown]
	.long	1043863326                      ; 0x3e38171e
	.long	1747369107                      ; 0x6826bc93
	;; [unrolled: 1-line block ×3, first 2 shown]
	.long	172569313                       ; 0xa4932e1
	.long	2740699699                      ; 0xa35bc233
	.long	3417082503                      ; 0xcbac8a87
	;; [unrolled: 1-line block ×9, first 2 shown]
	.long	956763257                       ; 0x39070c79
	.long	3932467825                      ; 0xea64b271
	.long	1077337271                      ; 0x4036dcb7
	;; [unrolled: 1-line block ×5, first 2 shown]
	.long	236113740                       ; 0xe12cf4c
	.long	3116302858                      ; 0xb9bf020a
	.long	2730529598                      ; 0xa2c0933e
	;; [unrolled: 1-line block ×7, first 2 shown]
	.long	2852603                         ; 0x2b86fb
	.long	1682999535                      ; 0x645088ef
	.long	2764817908                      ; 0xa4cbc5f4
	;; [unrolled: 1-line block ×3, first 2 shown]
	.long	261936311                       ; 0xf9cd4b7
	.long	3122421452                      ; 0xba1c5ecc
	.long	1199382345                      ; 0x477d1f49
	;; [unrolled: 1-line block ×6, first 2 shown]
	.long	97847107                        ; 0x5d50743
	.long	1260892586                      ; 0x4b27b1aa
	.long	187242945                       ; 0xb2919c1
	.long	1286471861                      ; 0x4cae00b5
	.long	1763024967                      ; 0x6915a047
	.long	127723419                       ; 0x79ce79b
	.long	210606273                       ; 0xc8d98c1
	.long	228546401                       ; 0xd9f5761
	.long	3249879676                      ; 0xc1b53a7c
	.long	482069954                       ; 0x1cbbcdc2
	.long	383075106                       ; 0x16d54322
	.long	3263105259                      ; 0xc27f08eb
	.long	2242748676                      ; 0x85ada104
	;; [unrolled: 1-line block ×11, first 2 shown]
	.long	286336494                       ; 0x111125ee
	.long	3664225263                      ; 0xda67a3ef
	.long	502759060                       ; 0x1df77e94
	.long	777620620                       ; 0x2e598c8c
	;; [unrolled: 1-line block ×4, first 2 shown]
	.long	1866406173                      ; 0x6f3f191d
	.long	1235046453                      ; 0x499d5035
	;; [unrolled: 1-line block ×3, first 2 shown]
	.long	121814656                       ; 0x742be80
	.long	944976320                       ; 0x385331c0
	.long	1946494170                      ; 0x740524da
	.long	2548097575                      ; 0x97e0e227
	.long	415384946                       ; 0x18c24572
	.long	3934685646                      ; 0xea8689ce
	.long	1507032178                      ; 0x59d37c72
	.long	1383654007                      ; 0x5278e277
	.long	2906269630                      ; 0xad3a27be
	.long	566005756                       ; 0x21bc8ffc
	.long	3118733139                      ; 0xb9e41753
	.long	2969075870                      ; 0xb0f8809e
	;; [unrolled: 1-line block ×5, first 2 shown]
	.long	904583023                       ; 0x35ead76f
	.long	3582075094                      ; 0xd58220d6
	.long	2298898632                      ; 0x890668c8
	;; [unrolled: 1-line block ×3, first 2 shown]
	.long	660351763                       ; 0x275c2b13
	.long	2548592542                      ; 0x97e86f9e
	.long	3009200751                      ; 0xb35cc26f
	;; [unrolled: 1-line block ×5, first 2 shown]
	.long	196759529                       ; 0xbba4fe9
	.long	3038645579                      ; 0xb51e0d4b
	.long	1769704552                      ; 0x697b8c68
	.long	1713233322                      ; 0x661dddaa
	.long	2127497999                      ; 0x7ecf0b0f
	.long	3849458221                      ; 0xe572122d
	.long	3769872265                      ; 0xe0b3af89
	.long	51082211                        ; 0x30b73e3
	.long	3347503176                      ; 0xc786d848
	.long	3221768777                      ; 0xc0084a49
	;; [unrolled: 1-line block ×13, first 2 shown]
	.long	495459467                       ; 0x1d881c8b
	.long	1728339314                      ; 0x67045d72
	.long	2318396341                      ; 0x8a2febb5
	;; [unrolled: 1-line block ×12, first 2 shown]
	.long	41981087                        ; 0x280949f
	.long	2304966004                      ; 0x8962fd74
	.long	1342745986                      ; 0x5008ad82
	;; [unrolled: 1-line block ×4, first 2 shown]
	.long	752263676                       ; 0x2cd6a1fc
	.long	280905885                       ; 0x10be489d
	;; [unrolled: 1-line block ×3, first 2 shown]
	.long	4090689526                      ; 0xf3d2f7f6
	.long	2141254732                      ; 0x7fa0f44c
	;; [unrolled: 1-line block ×15, first 2 shown]
	.long	116832506                       ; 0x6f6b8fa
	.long	3097397897                      ; 0xb89e8a89
	.long	961156503                       ; 0x394a1597
	.long	1899056660                      ; 0x71314e14
	.long	1659173175                      ; 0x62e4f937
	;; [unrolled: 1-line block ×4, first 2 shown]
	.long	191259956                       ; 0xb666534
	.long	1735304734                      ; 0x676ea61e
	.long	4246751855                      ; 0xfd204a6f
	;; [unrolled: 1-line block ×5, first 2 shown]
	.long	997567482                       ; 0x3b75abfa
	.long	2277782972                      ; 0x87c435bc
	.long	1286922996                      ; 0x4cb4e2f4
	;; [unrolled: 1-line block ×3, first 2 shown]
	.long	15569196                        ; 0xed912c
	.long	191501283                       ; 0xb6a13e3
	.long	3916619528                      ; 0xe972df08
	.long	1552075789                      ; 0x5c82cc0d
	;; [unrolled: 1-line block ×10, first 2 shown]
	.long	186794491                       ; 0xb2241fb
	.long	3608172979                      ; 0xd71059b3
	.long	1991038123                      ; 0x76acd4ab
	.long	97515853                        ; 0x5cff94d
	.long	34341352                        ; 0x20c01e8
	.long	4163491231                      ; 0xf829d59f
	.long	1046079304                      ; 0x3e59e748
	;; [unrolled: 1-line block ×8, first 2 shown]
	.long	85024486                        ; 0x5115ee6
	.long	3019925981                      ; 0xb40069dd
	.long	3069231953                      ; 0xb6f0c351
	.long	1563669137                      ; 0x5d33b291
	.long	314080592                       ; 0x12b87d50
	.long	2943111861                      ; 0xaf6c52b5
	.long	2838243982                      ; 0xa92c2a8e
	.long	726216848                       ; 0x2b493090
	.long	2621853102                      ; 0x9c464dae
	.long	2355885175                      ; 0x8c6bf477
	;; [unrolled: 1-line block ×7, first 2 shown]
	.long	1632078                         ; 0x18e74e
	.long	1047440803                      ; 0x3e6eada3
	.long	1350377197                      ; 0x507d1eed
	;; [unrolled: 1-line block ×5, first 2 shown]
	.long	860259543                       ; 0x334684d7
	.long	1937956234                      ; 0x7382dd8a
	.long	2833820527                      ; 0xa8e8ab6f
	.long	329818923                       ; 0x13a8a32b
	.long	648489148                       ; 0x26a728bc
	.long	1791961202                      ; 0x6acf2872
	.long	1652322723                      ; 0x627c71a3
	.long	1513419073                      ; 0x5a34f141
	.long	149629345                       ; 0x8eb29a1
	.long	2468961221                      ; 0x93295bc5
	.long	3711837973                      ; 0xdd3e2715
	;; [unrolled: 1-line block ×8, first 2 shown]
	.long	303393137                       ; 0x12156971
	.long	1346302239                      ; 0x503ef11f
	.long	1852307302                      ; 0x6e67f766
	.long	850106025                       ; 0x32ab96a9
	.long	2473124483                      ; 0x9368e283
	.long	2853497268                      ; 0xaa14e9b4
	.long	3786573704                      ; 0xe1b28788
	.long	2604101162                      ; 0x9b376e2a
	.long	1446573486                      ; 0x5638f5ae
	.long	506925220                       ; 0x1e3710a4
	.long	3138967488                      ; 0xbb18d7c0
	.long	2973528682                      ; 0xb13c726a
	;; [unrolled: 1-line block ×18, first 2 shown]
	.long	87814045                        ; 0x53bef9d
	.long	878611347                       ; 0x345e8b93
	.long	812542698                       ; 0x306e6aea
	.long	51082211                        ; 0x30b73e3
	.long	3347503176                      ; 0xc786d848
	.long	3221768777                      ; 0xc0084a49
	;; [unrolled: 1-line block ×3, first 2 shown]
	.long	277257023                       ; 0x10869b3f
	.long	1716372908                      ; 0x664dc5ac
	.long	4132024211                      ; 0xf649af93
	;; [unrolled: 1-line block ×22, first 2 shown]
	.long	41981087                        ; 0x280949f
	.long	2304966004                      ; 0x8962fd74
	.long	484289311                       ; 0x1cddab1f
	.long	3425554050                      ; 0xcc2dce82
	.long	3537673465                      ; 0xd2dc9cf9
	.long	752263676                       ; 0x2cd6a1fc
	.long	280905885                       ; 0x10be489d
	;; [unrolled: 1-line block ×3, first 2 shown]
	.long	4090689526                      ; 0xf3d2f7f6
	.long	2141254732                      ; 0x7fa0f44c
	;; [unrolled: 1-line block ×15, first 2 shown]
	.long	116832506                       ; 0x6f6b8fa
	.long	3097397897                      ; 0xb89e8a89
	.long	961156503                       ; 0x394a1597
	.long	1899056660                      ; 0x71314e14
	.long	2234120716                      ; 0x8529fa0c
	;; [unrolled: 1-line block ×4, first 2 shown]
	.long	191259956                       ; 0xb666534
	.long	1735304734                      ; 0x676ea61e
	.long	125359575                       ; 0x778d5d7
	.long	4285601625                      ; 0xff711759
	.long	1495519933                      ; 0x5923d2bd
	;; [unrolled: 1-line block ×3, first 2 shown]
	.long	997567482                       ; 0x3b75abfa
	.long	4034254942                      ; 0xf075d85e
	.long	1286922996                      ; 0x4cb4e2f4
	;; [unrolled: 1-line block ×3, first 2 shown]
	.long	15569196                        ; 0xed912c
	.long	191501283                       ; 0xb6a13e3
	.long	2090684174                      ; 0x7c9d4f0e
	.long	1552075789                      ; 0x5c82cc0d
	.long	4259725643                      ; 0xfde6414b
	.long	2837166910                      ; 0xa91bbb3e
	.long	2231584792                      ; 0x85034818
	.long	3412758413                      ; 0xcb6a8f8d
	.long	2597304083                      ; 0x9acfb713
	.long	4147585653                      ; 0xf7372275
	.long	1021482843                      ; 0x3ce2975b
	.long	2003417305                      ; 0x7769b8d9
	.long	2464533361                      ; 0x92e5cb71
	.long	3608172979                      ; 0xd71059b3
	.long	1991038123                      ; 0x76acd4ab
	.long	97515853                        ; 0x5cff94d
	.long	34341352                        ; 0x20c01e8
	.long	2634732952                      ; 0x9d0ad598
	.long	1046079304                      ; 0x3e59e748
	;; [unrolled: 1-line block ×8, first 2 shown]
	.long	85024486                        ; 0x5115ee6
	.long	3019925981                      ; 0xb40069dd
	.long	3229477751                      ; 0xc07deb77
	;; [unrolled: 1-line block ×3, first 2 shown]
	.long	314080592                       ; 0x12b87d50
	.long	2943111861                      ; 0xaf6c52b5
	.long	2838243982                      ; 0xa92c2a8e
	;; [unrolled: 1-line block ×10, first 2 shown]
	.long	1632078                         ; 0x18e74e
	.long	1047440803                      ; 0x3e6eada3
	.long	623898652                       ; 0x252ff01c
	.long	2490578842                      ; 0x9473379a
	.long	2366345698                      ; 0x8d0b91e2
	.long	1628128899                      ; 0x610b4683
	.long	860259543                       ; 0x334684d7
	.long	2097114662                      ; 0x7cff6e26
	.long	2833820527                      ; 0xa8e8ab6f
	.long	329818923                       ; 0x13a8a32b
	.long	648489148                       ; 0x26a728bc
	.long	1791961202                      ; 0x6acf2872
	.long	1730000077                      ; 0x671db4cd
	;; [unrolled: 1-line block ×3, first 2 shown]
	.long	149629345                       ; 0x8eb29a1
	.long	2468961221                      ; 0x93295bc5
	.long	3711837973                      ; 0xdd3e2715
	;; [unrolled: 1-line block ×8, first 2 shown]
	.long	303393137                       ; 0x12156971
	.long	1346302239                      ; 0x503ef11f
	.long	1852307302                      ; 0x6e67f766
	.long	850106025                       ; 0x32ab96a9
	.long	3523245944                      ; 0xd2007778
	.long	2853497268                      ; 0xaa14e9b4
	;; [unrolled: 1-line block ×15, first 2 shown]
	.long	608940900                       ; 0x244bb364
	.long	3870707795                      ; 0xe6b65053
	.long	4141538580                      ; 0xf6dadd14
	;; [unrolled: 1-line block ×4, first 2 shown]
	.long	728626935                       ; 0x2b6df6f7
	.long	3689191993                      ; 0xdbe49a39
	.long	1933431212                      ; 0x733dd1ac
	.long	2196145886                      ; 0x82e686de
	.long	87814045                        ; 0x53bef9d
	.long	646732047                       ; 0x268c590f
	.long	812542698                       ; 0x306e6aea
	.long	51082211                        ; 0x30b73e3
	.long	3347503176                      ; 0xc786d848
	.long	3221768777                      ; 0xc0084a49
	;; [unrolled: 1-line block ×3, first 2 shown]
	.long	277257023                       ; 0x10869b3f
	.long	1716372908                      ; 0x664dc5ac
	.long	4132024211                      ; 0xf649af93
	;; [unrolled: 1-line block ×22, first 2 shown]
	.long	41981087                        ; 0x280949f
	.long	2348931916                      ; 0x8c01db4c
	.long	484289311                       ; 0x1cddab1f
	.long	3425554050                      ; 0xcc2dce82
	.long	3537673465                      ; 0xd2dc9cf9
	.long	752263676                       ; 0x2cd6a1fc
	.long	3169550883                      ; 0xbceb8223
	.long	657028134                       ; 0x27297426
	.long	4090689526                      ; 0xf3d2f7f6
	.long	2141254732                      ; 0x7fa0f44c
	;; [unrolled: 1-line block ×15, first 2 shown]
	.long	116832506                       ; 0x6f6b8fa
	.long	3097397897                      ; 0xb89e8a89
	.long	961156503                       ; 0x394a1597
	.long	1581804167                      ; 0x5e486a87
	.long	2234120716                      ; 0x8529fa0c
	.long	1890464921                      ; 0x70ae3499
	.long	1891872926                      ; 0x70c3b09e
	.long	191259956                       ; 0xb666534
	.long	4113708001                      ; 0xf53233e1
	.long	125359575                       ; 0x778d5d7
	.long	4285601625                      ; 0xff711759
	.long	1495519933                      ; 0x5923d2bd
	;; [unrolled: 1-line block ×7, first 2 shown]
	.long	15569196                        ; 0xed912c
	.long	3122200488                      ; 0xba18ffa8
	.long	2090684174                      ; 0x7c9d4f0e
	;; [unrolled: 1-line block ×10, first 2 shown]
	.long	954000150                       ; 0x38dce316
	.long	2464533361                      ; 0x92e5cb71
	.long	3608172979                      ; 0xd71059b3
	;; [unrolled: 1-line block ×3, first 2 shown]
	.long	97515853                        ; 0x5cff94d
	.long	3832321348                      ; 0xe46c9544
	.long	2634732952                      ; 0x9d0ad598
	;; [unrolled: 1-line block ×9, first 2 shown]
	.long	85024486                        ; 0x5115ee6
	.long	1080403742                      ; 0x4065a71e
	.long	3229477751                      ; 0xc07deb77
	;; [unrolled: 1-line block ×3, first 2 shown]
	.long	314080592                       ; 0x12b87d50
	.long	2943111861                      ; 0xaf6c52b5
	.long	3357655593                      ; 0xc821c229
	;; [unrolled: 1-line block ×10, first 2 shown]
	.long	1632078                         ; 0x18e74e
	.long	4263556325                      ; 0xfe20b4e5
	.long	623898652                       ; 0x252ff01c
	.long	2490578842                      ; 0x9473379a
	.long	2366345698                      ; 0x8d0b91e2
	;; [unrolled: 1-line block ×6, first 2 shown]
	.long	329818923                       ; 0x13a8a32b
	.long	648489148                       ; 0x26a728bc
	.long	592747007                       ; 0x235499ff
	.long	1730000077                      ; 0x671db4cd
	.long	1513419073                      ; 0x5a34f141
	.long	149629345                       ; 0x8eb29a1
	.long	2468961221                      ; 0x93295bc5
	.long	3766709284                      ; 0xe0836c24
	;; [unrolled: 1-line block ×8, first 2 shown]
	.long	303393137                       ; 0x12156971
	.long	1346302239                      ; 0x503ef11f
	.long	1852307302                      ; 0x6e67f766
	.long	579487408                       ; 0x228a46b0
	.long	3523245944                      ; 0xd2007778
	.long	2853497268                      ; 0xaa14e9b4
	;; [unrolled: 1-line block ×15, first 2 shown]
	.long	608940900                       ; 0x244bb364
	.long	3870707795                      ; 0xe6b65053
	.long	4141538580                      ; 0xf6dadd14
	;; [unrolled: 1-line block ×4, first 2 shown]
	.long	728626935                       ; 0x2b6df6f7
	.long	3689191993                      ; 0xdbe49a39
	.long	1933431212                      ; 0x733dd1ac
	;; [unrolled: 1-line block ×4, first 2 shown]
	.long	646732047                       ; 0x268c590f
	.long	812542698                       ; 0x306e6aea
	.long	51082211                        ; 0x30b73e3
	.long	3347503176                      ; 0xc786d848
	.long	3622107037                      ; 0xd7e4f79d
	;; [unrolled: 1-line block ×3, first 2 shown]
	.long	277257023                       ; 0x10869b3f
	.long	1716372908                      ; 0x664dc5ac
	.long	4132024211                      ; 0xf649af93
	;; [unrolled: 1-line block ×12, first 2 shown]
	.long	580990822                       ; 0x22a13766
	.long	2279941522                      ; 0x87e52592
	.long	2530282967                      ; 0x96d10dd7
	;; [unrolled: 1-line block ×11, first 2 shown]
	.long	484289311                       ; 0x1cddab1f
	.long	3425554050                      ; 0xcc2dce82
	.long	3537673465                      ; 0xd2dc9cf9
	;; [unrolled: 1-line block ×4, first 2 shown]
	.long	657028134                       ; 0x27297426
	.long	4090689526                      ; 0xf3d2f7f6
	.long	2141254732                      ; 0x7fa0f44c
	.long	1019244016                      ; 0x3cc06df0
	.long	1152943917                      ; 0x44b8872d
	.long	2089385540                      ; 0x7c897e44
	.long	3316809312                      ; 0xc5b27e60
	.long	1698245188                      ; 0x65392a44
	.long	2921739456                      ; 0xae2634c0
	.long	1808689833                      ; 0x6bce6aa9
	.long	2750354264                      ; 0xa3ef1358
	.long	3850483440                      ; 0xe581b6f0
	.long	4081834419                      ; 0xf34bd9b3
	.long	108425527                       ; 0x6767137
	.long	2422106046                      ; 0x905e67be
	.long	3432605739                      ; 0xcc99682b
	.long	116832506                       ; 0x6f6b8fa
	.long	3097397897                      ; 0xb89e8a89
	.long	3902994002                      ; 0xe8a2f652
	;; [unrolled: 1-line block ×8, first 2 shown]
	.long	125359575                       ; 0x778d5d7
	.long	4285601625                      ; 0xff711759
	.long	1495519933                      ; 0x5923d2bd
	;; [unrolled: 1-line block ×18, first 2 shown]
	.long	954000150                       ; 0x38dce316
	.long	2464533361                      ; 0x92e5cb71
	.long	3608172979                      ; 0xd71059b3
	;; [unrolled: 1-line block ×17, first 2 shown]
	.long	314080592                       ; 0x12b87d50
	.long	1737897403                      ; 0x679635bb
	.long	3357655593                      ; 0xc821c229
	;; [unrolled: 1-line block ×5, first 2 shown]
	.long	57997639                        ; 0x374f947
	.long	3722440291                      ; 0xdddfee63
	.long	1615234696                      ; 0x60468688
	;; [unrolled: 1-line block ×6, first 2 shown]
	.long	623898652                       ; 0x252ff01c
	.long	2490578842                      ; 0x9473379a
	.long	2366345698                      ; 0x8d0b91e2
	.long	73788443                        ; 0x465ec1b
	.long	3623136669                      ; 0xd7f4ad9d
	.long	2097114662                      ; 0x7cff6e26
	;; [unrolled: 1-line block ×3, first 2 shown]
	.long	329818923                       ; 0x13a8a32b
	.long	253042650                       ; 0xf151fda
	.long	592747007                       ; 0x235499ff
	.long	1730000077                      ; 0x671db4cd
	.long	1513419073                      ; 0x5a34f141
	.long	149629345                       ; 0x8eb29a1
	.long	4248302934                      ; 0xfd37f556
	.long	3766709284                      ; 0xe0836c24
	;; [unrolled: 1-line block ×8, first 2 shown]
	.long	303393137                       ; 0x12156971
	.long	1346302239                      ; 0x503ef11f
	.long	3872433842                      ; 0xe6d0a6b2
	.long	579487408                       ; 0x228a46b0
	.long	3523245944                      ; 0xd2007778
	.long	2853497268                      ; 0xaa14e9b4
	;; [unrolled: 1-line block ×15, first 2 shown]
	.long	608940900                       ; 0x244bb364
	.long	3870707795                      ; 0xe6b65053
	.long	4141538580                      ; 0xf6dadd14
	;; [unrolled: 1-line block ×4, first 2 shown]
	.long	728626935                       ; 0x2b6df6f7
	.long	3689191993                      ; 0xdbe49a39
	.long	1933431212                      ; 0x733dd1ac
	;; [unrolled: 1-line block ×8, first 2 shown]
	.long	947907377                       ; 0x387feb31
	.long	3772487849                      ; 0xe0db98a9
	.long	2002599877                      ; 0x775d3fc5
	;; [unrolled: 1-line block ×7, first 2 shown]
	.long	255142205                       ; 0xf35293d
	.long	751273749                       ; 0x2cc78715
	.long	4049362748                      ; 0xf15c5f3c
	.long	1434168014                      ; 0x557baace
	;; [unrolled: 1-line block ×3, first 2 shown]
	.long	6910933                         ; 0x6973d5
	.long	1352778547                      ; 0x50a1c333
	.long	2413649875                      ; 0x8fdd5fd3
	;; [unrolled: 1-line block ×3, first 2 shown]
	.long	484497407                       ; 0x1ce0d7ff
	.long	522555106                       ; 0x1f258ee2
	.long	1848417180                      ; 0x6e2c9b9c
	.long	3001805499                      ; 0xb2ebeabb
	;; [unrolled: 1-line block ×13, first 2 shown]
	.long	472918932                       ; 0x1c302b94
	.long	3835854229                      ; 0xe4a27d95
	.long	4259163014                      ; 0xfdddab86
	;; [unrolled: 1-line block ×11, first 2 shown]
	.long	643649427                       ; 0x265d4f93
	.long	3847742408                      ; 0xe557e3c8
	.long	1512435795                      ; 0x5a25f053
	;; [unrolled: 1-line block ×4, first 2 shown]
	.long	397093640                       ; 0x17ab2b08
	.long	2940663643                      ; 0xaf46f75b
	.long	4156440725                      ; 0xf7be4095
	.long	188785143                       ; 0xb40a1f7
	.long	3894740830                      ; 0xe825075e
	.long	897618321                       ; 0x35809191
	.long	3333498692                      ; 0xc6b12744
	.long	1623924612                      ; 0x60cb1f84
	;; [unrolled: 1-line block ×10, first 2 shown]
	.long	791442469                       ; 0x2f2c7425
	.long	1782204490                      ; 0x6a3a484a
	.long	2452634246                      ; 0x92303a86
	;; [unrolled: 1-line block ×4, first 2 shown]
	.long	112254281                       ; 0x6b0dd49
	.long	2044140398                      ; 0x79d71b6e
	.long	2479591984                      ; 0x93cb9230
	;; [unrolled: 1-line block ×17, first 2 shown]
	.long	769314834                       ; 0x2ddad012
	.long	601313429                       ; 0x23d75095
	.long	3595357440                      ; 0xd64ccd00
	.long	561383123                       ; 0x217606d3
	.long	3444949507                      ; 0xcd55c203
	.long	2127327734                      ; 0x7ecc71f6
	;; [unrolled: 1-line block ×5, first 2 shown]
	.long	309361635                       ; 0x12707be3
	.long	2377703815                      ; 0x8db8e187
	.long	1109219406                      ; 0x421d584e
	.long	406287309                       ; 0x183773cd
	.long	1750179098                      ; 0x68519d1a
	.long	3619129839                      ; 0xd7b789ef
	.long	937928728                       ; 0x37e7a818
	.long	884423945                       ; 0x34b73d09
	;; [unrolled: 1-line block ×3, first 2 shown]
	.long	4173634172                      ; 0xf8c49a7c
	.long	1492070114                      ; 0x58ef2ee2
	;; [unrolled: 1-line block ×5, first 2 shown]
	.long	744370087                       ; 0x2c5e2fa7
	.long	4004118884                      ; 0xeeaa0164
	.long	2199449568                      ; 0x8318efe0
	.long	879458863                       ; 0x346b7a2f
	.long	3197725005                      ; 0xbe99694d
	.long	3590586547                      ; 0xd60400b3
	.long	59693002                        ; 0x38ed7ca
	.long	3614114662                      ; 0xd76b0366
	.long	1499386564                      ; 0x595ed2c4
	;; [unrolled: 1-line block ×4, first 2 shown]
	.long	947438603                       ; 0x3878c40b
	.long	1986129491                      ; 0x7661ee53
	.long	3747112289                      ; 0xdf586561
	.long	833777768                       ; 0x31b27068
	.long	2231649410                      ; 0x85044482
	.long	1841607849                      ; 0x6dc4b4a9
	.long	3526253103                      ; 0xd22e5a2f
	.long	3797105813                      ; 0xe2533c95
	.long	1291185911                      ; 0x4cf5eef7
	.long	3188408549                      ; 0xbe0b40e5
	.long	3311027691                      ; 0xc55a45eb
	.long	3983681758                      ; 0xed7228de
	.long	2246511800                      ; 0x85e70cb8
	.long	1271525377                      ; 0x4bc9f001
	.long	2996265908                      ; 0xb29763b4
	.long	2396071405                      ; 0x8ed125ed
	.long	902427181                       ; 0x35c9f22d
	.long	164636454                       ; 0x9d02726
	.long	2459631341                      ; 0x929afeed
	.long	635349368                       ; 0x25dea978
	.long	463309029                       ; 0x1b9d88e5
	.long	1409367654                      ; 0x54013e66
	.long	849052250                       ; 0x329b825a
	.long	3221786769                      ; 0xc0089091
	.long	2310288531                      ; 0x89b43493
	;; [unrolled: 1-line block ×11, first 2 shown]
	.long	22933757                        ; 0x15df0fd
	.long	2160014758                      ; 0x80bf35a6
	.long	3736092460                      ; 0xdeb03f2c
	;; [unrolled: 1-line block ×5, first 2 shown]
	.long	309323868                       ; 0x126fe85c
	.long	3452852627                      ; 0xcdce5993
	.long	3424626316                      ; 0xcc1fa68c
	.long	545651740                       ; 0x2085fc1c
	.long	1935764720                      ; 0x73616cf0
	.long	2349926457                      ; 0x8c110839
	;; [unrolled: 1-line block ×3, first 2 shown]
	.long	862046434                       ; 0x3361c8e2
	.long	167198649                       ; 0x9f73fb9
	;; [unrolled: 1-line block ×3, first 2 shown]
	.long	1145807303                      ; 0x444ba1c7
	.long	1571276102                      ; 0x5da7c546
	.long	883549156                       ; 0x34a9e3e4
	.long	907871968                       ; 0x361d06e0
	;; [unrolled: 1-line block ×4, first 2 shown]
	.long	3795356864                      ; 0xe2388cc0
	.long	3306095271                      ; 0xc50f02a7
	;; [unrolled: 1-line block ×3, first 2 shown]
	.long	621126888                       ; 0x2505a4e8
	.long	1838613968                      ; 0x6d9705d0
	.long	2054107827                      ; 0x7a6f32b3
	;; [unrolled: 1-line block ×3, first 2 shown]
	.long	454879400                       ; 0x1b1ce8a8
	.long	1952849106                      ; 0x74661cd2
	.long	1907701866                      ; 0x71b5386a
	;; [unrolled: 1-line block ×17, first 2 shown]
	.long	310692416                       ; 0x1284ca40
	.long	384880529                       ; 0x16f0cf91
	.long	3497622676                      ; 0xd0797c94
	.long	1024664651                      ; 0x3d13244b
	;; [unrolled: 1-line block ×6, first 2 shown]
	.long	684112698                       ; 0x28c6bb3a
	.long	3332034744                      ; 0xc69ad0b8
	.long	3646613828                      ; 0xd95ae944
	.long	962627614                       ; 0x3960881e
	.long	3072103948                      ; 0xb71c960c
	.long	3713153075                      ; 0xdd523833
	.long	476323310                       ; 0x1c641dee
	.long	3243124597                      ; 0xc14e2775
	.long	126319837                       ; 0x7877cdd
	;; [unrolled: 2-line block ×3, first 2 shown]
	.long	2142696490                      ; 0x7fb6f42a
	.long	3442722759                      ; 0xcd33c7c7
	;; [unrolled: 1-line block ×3, first 2 shown]
	.long	426191419                       ; 0x19672a3b
	.long	3157759186                      ; 0xbc3794d2
	.long	100239709                       ; 0x5f9895d
	.long	494534049                       ; 0x1d79fda1
	.long	1259677734                      ; 0x4b152826
	.long	2889209278                      ; 0xac35d5be
	;; [unrolled: 1-line block ×12, first 2 shown]
	.long	260248338                       ; 0xf831312
	.long	2570702480                      ; 0x9939ce90
	.long	2067671015                      ; 0x7b3e27e7
	.long	3168497089                      ; 0xbcdb6dc1
	.long	361311552                       ; 0x15892d40
	.long	2123195373                      ; 0x7e8d63ed
	.long	2825457193                      ; 0xa8690e29
	;; [unrolled: 1-line block ×3, first 2 shown]
	.long	507483626                       ; 0x1e3f95ea
	.long	1201669979                      ; 0x47a0075b
	.long	910763802                       ; 0x3649271a
	.long	4158584821                      ; 0xf7def7f5
	.long	3116016424                      ; 0xb9baa328
	;; [unrolled: 1-line block ×7, first 2 shown]
	.long	681020485                       ; 0x28978c45
	.long	4044713962                      ; 0xf1156fea
	.long	2443109893                      ; 0x919ee605
	.long	129994063                       ; 0x7bf8d4f
	.long	1710251126                      ; 0x65f05c76
	.long	820410567                       ; 0x30e678c7
	.long	601527649                       ; 0x23da9561
	.long	1007603132                      ; 0x3c0ecdbc
	.long	2096580480                      ; 0x7cf74780
	;; [unrolled: 1-line block ×5, first 2 shown]
	.long	960265104                       ; 0x393c7b90
	.long	527990410                       ; 0x1f787e8a
	.long	1572910026                      ; 0x5dc0b3ca
	.long	1106822080                      ; 0x41f8c3c0
	.long	1472807331                      ; 0x57c941a3
	.long	2465011897                      ; 0x92ed18b9
	.long	3139401215                      ; 0xbb1f75ff
	.long	3705452371                      ; 0xdcdcb753
	.long	393081842                       ; 0x176df3f2
	.long	3826516196                      ; 0xe41400e4
	.long	2576499701                      ; 0x999243f5
	;; [unrolled: 1-line block ×7, first 2 shown]
	.long	858751984                       ; 0x332f83f0
	.long	3735375571                      ; 0xdea54ed3
	.long	496972334                       ; 0x1d9f322e
	.long	830265621                       ; 0x317cd915
	.long	1355757111                      ; 0x50cf3637
	.long	909444416                       ; 0x36350540
	.long	1337622259                      ; 0x4fba7ef3
	.long	2616327935                      ; 0x9bf1feff
	;; [unrolled: 1-line block ×5, first 2 shown]
	.long	796316592                       ; 0x2f76d3b0
	.long	1893005585                      ; 0x70d4f911
	.long	3958551664                      ; 0xebf2b470
	;; [unrolled: 1-line block ×12, first 2 shown]
	.long	505718946                       ; 0x1e24a8a2
	.long	3755903648                      ; 0xdfde8aa0
	.long	3351468604                      ; 0xc7c35a3c
	;; [unrolled: 1-line block ×5, first 2 shown]
	.long	22933757                        ; 0x15df0fd
	.long	2160014758                      ; 0x80bf35a6
	.long	2321387515                      ; 0x8a5d8ffb
	;; [unrolled: 1-line block ×5, first 2 shown]
	.long	309323868                       ; 0x126fe85c
	.long	1850700415                      ; 0x6e4f727f
	.long	3424626316                      ; 0xcc1fa68c
	.long	545651740                       ; 0x2085fc1c
	.long	1935764720                      ; 0x73616cf0
	.long	2349926457                      ; 0x8c110839
	.long	979047283                       ; 0x3a5b1373
	.long	862046434                       ; 0x3361c8e2
	;; [unrolled: 1-line block ×4, first 2 shown]
	.long	1145807303                      ; 0x444ba1c7
	.long	4201635137                      ; 0xfa6fdd41
	.long	883549156                       ; 0x34a9e3e4
	.long	907871968                       ; 0x361d06e0
	;; [unrolled: 1-line block ×4, first 2 shown]
	.long	2637527083                      ; 0x9d35782b
	.long	3306095271                      ; 0xc50f02a7
	;; [unrolled: 1-line block ×3, first 2 shown]
	.long	621126888                       ; 0x2505a4e8
	.long	1838613968                      ; 0x6d9705d0
	.long	117966344                       ; 0x7080608
	.long	1785040579                      ; 0x6a658ec3
	;; [unrolled: 2-line block ×3, first 2 shown]
	.long	1907701866                      ; 0x71b5386a
	.long	733998186                       ; 0x2bbfec6a
	.long	1623968604                      ; 0x60cbcb5c
	.long	2997422000                      ; 0xb2a907b0
	.long	2633878652                      ; 0x9cfdcc7c
	.long	1036670775                      ; 0x3dca5737
	.long	3360491537                      ; 0xc84d0811
	.long	3053533585                      ; 0xb6013991
	.long	1654709920                      ; 0x62a0dea0
	.long	1950620393                      ; 0x74441ae9
	.long	4177745509                      ; 0xf9035665
	.long	1716078578                      ; 0x664947f2
	.long	2888573892                      ; 0xac2c23c4
	.long	2825965566                      ; 0xa870cffe
	.long	1399790365                      ; 0x536f1b1d
	.long	1307674482                      ; 0x4df18772
	.long	2776111761                      ; 0xa5781a91
	.long	384880529                       ; 0x16f0cf91
	.long	3497622676                      ; 0xd0797c94
	.long	1024664651                      ; 0x3d13244b
	;; [unrolled: 1-line block ×3, first 2 shown]
	.long	618916624                       ; 0x24e3eb10
	.long	1008618602                      ; 0x3c1e4c6a
	.long	2816673160                      ; 0xa7e30588
	.long	684112698                       ; 0x28c6bb3a
	.long	3332034744                      ; 0xc69ad0b8
	.long	3340690804                      ; 0xc71ee574
	;; [unrolled: 3-line block ×3, first 2 shown]
	.long	476323310                       ; 0x1c641dee
	.long	902990902                       ; 0x35d28c36
	;; [unrolled: 1-line block ×3, first 2 shown]
	.long	2155412848                      ; 0x8078fd70
	.long	228580793                       ; 0xd9fddb9
	.long	2142696490                      ; 0x7fb6f42a
	.long	4254301999                      ; 0xfd937f2f
	;; [unrolled: 1-line block ×3, first 2 shown]
	.long	426191419                       ; 0x19672a3b
	.long	3157759186                      ; 0xbc3794d2
	.long	100239709                       ; 0x5f9895d
	.long	3216403640                      ; 0xbfb66cb8
	.long	1259677734                      ; 0x4b152826
	;; [unrolled: 1-line block ×13, first 2 shown]
	.long	260248338                       ; 0xf831312
	.long	2570702480                      ; 0x9939ce90
	.long	1879451653                      ; 0x70062805
	;; [unrolled: 1-line block ×3, first 2 shown]
	.long	361311552                       ; 0x15892d40
	.long	2123195373                      ; 0x7e8d63ed
	.long	2825457193                      ; 0xa8690e29
	.long	341920668                       ; 0x14614b9c
	.long	507483626                       ; 0x1e3f95ea
	.long	1201669979                      ; 0x47a0075b
	.long	910763802                       ; 0x3649271a
	.long	4158584821                      ; 0xf7def7f5
	.long	3748705813                      ; 0xdf70b615
	;; [unrolled: 1-line block ×7, first 2 shown]
	.long	681020485                       ; 0x28978c45
	.long	4044713962                      ; 0xf1156fea
	.long	2443109893                      ; 0x919ee605
	.long	129994063                       ; 0x7bf8d4f
	.long	2578353596                      ; 0x99ae8dbc
	.long	820410567                       ; 0x30e678c7
	.long	601527649                       ; 0x23da9561
	.long	1007603132                      ; 0x3c0ecdbc
	.long	2096580480                      ; 0x7cf74780
	.long	3155251071                      ; 0xbc114f7f
	.long	1984297765                      ; 0x7645fb25
	.long	1888157243                      ; 0x708afe3b
	.long	960265104                       ; 0x393c7b90
	.long	527990410                       ; 0x1f787e8a
	.long	2548692624                      ; 0x97e9f690
	.long	1106822080                      ; 0x41f8c3c0
	.long	1472807331                      ; 0x57c941a3
	.long	2465011897                      ; 0x92ed18b9
	;; [unrolled: 7-line block ×3, first 2 shown]
	.long	2188282304                      ; 0x826e89c0
	.long	2949056849                      ; 0xafc70951
	;; [unrolled: 1-line block ×3, first 2 shown]
	.long	858751984                       ; 0x332f83f0
	.long	191805249                       ; 0xb6eb741
	;; [unrolled: 1-line block ×4, first 2 shown]
	.long	1355757111                      ; 0x50cf3637
	.long	909444416                       ; 0x36350540
	.long	396738554                       ; 0x17a5bffa
	.long	2616327935                      ; 0x9bf1feff
	.long	2337227347                      ; 0x8b4f4253
	;; [unrolled: 1-line block ×17, first 2 shown]
	.long	505718946                       ; 0x1e24a8a2
	.long	3755903648                      ; 0xdfde8aa0
	.long	1770588062                      ; 0x6989079e
	;; [unrolled: 1-line block ×5, first 2 shown]
	.long	22933757                        ; 0x15df0fd
	.long	3159941473                      ; 0xbc58e161
	.long	2321387515                      ; 0x8a5d8ffb
	;; [unrolled: 1-line block ×8, first 2 shown]
	.long	545651740                       ; 0x2085fc1c
	.long	1935764720                      ; 0x73616cf0
	.long	3252475208                      ; 0xc1dcd548
	.long	979047283                       ; 0x3a5b1373
	.long	862046434                       ; 0x3361c8e2
	;; [unrolled: 1-line block ×5, first 2 shown]
	.long	4201635137                      ; 0xfa6fdd41
	.long	883549156                       ; 0x34a9e3e4
	.long	907871968                       ; 0x361d06e0
	;; [unrolled: 1-line block ×4, first 2 shown]
	.long	2637527083                      ; 0x9d35782b
	.long	3306095271                      ; 0xc50f02a7
	;; [unrolled: 1-line block ×3, first 2 shown]
	.long	621126888                       ; 0x2505a4e8
	.long	4275587594                      ; 0xfed84a0a
	.long	117966344                       ; 0x7080608
	.long	1785040579                      ; 0x6a658ec3
	;; [unrolled: 2-line block ×3, first 2 shown]
	.long	3806424990                      ; 0xe2e16f9e
	.long	733998186                       ; 0x2bbfec6a
	.long	1623968604                      ; 0x60cbcb5c
	.long	2997422000                      ; 0xb2a907b0
	;; [unrolled: 1-line block ×15, first 2 shown]
	.long	384880529                       ; 0x16f0cf91
	.long	3497622676                      ; 0xd0797c94
	.long	1024664651                      ; 0x3d13244b
	.long	723804135                       ; 0x2b245fe7
	.long	618916624                       ; 0x24e3eb10
	.long	1008618602                      ; 0x3c1e4c6a
	.long	2816673160                      ; 0xa7e30588
	.long	684112698                       ; 0x28c6bb3a
	.long	3275521308                      ; 0xc33c7d1c
	.long	3340690804                      ; 0xc71ee574
	;; [unrolled: 3-line block ×3, first 2 shown]
	.long	2023106558                      ; 0x789627fe
	.long	902990902                       ; 0x35d28c36
	.long	126319837                       ; 0x7877cdd
	.long	2155412848                      ; 0x8078fd70
	.long	228580793                       ; 0xd9fddb9
	.long	3978575748                      ; 0xed243f84
	.long	4254301999                      ; 0xfd937f2f
	;; [unrolled: 1-line block ×3, first 2 shown]
	.long	426191419                       ; 0x19672a3b
	.long	3157759186                      ; 0xbc3794d2
	.long	2446138116                      ; 0x91cd1b04
	;; [unrolled: 1-line block ×15, first 2 shown]
	.long	260248338                       ; 0xf831312
	.long	294480880                       ; 0x118d6bf0
	.long	1879451653                      ; 0x70062805
	.long	3168497089                      ; 0xbcdb6dc1
	.long	361311552                       ; 0x15892d40
	.long	2123195373                      ; 0x7e8d63ed
	.long	2080604411                      ; 0x7c0380fb
	.long	341920668                       ; 0x14614b9c
	.long	507483626                       ; 0x1e3f95ea
	.long	1201669979                      ; 0x47a0075b
	.long	910763802                       ; 0x3649271a
	.long	2012149356                      ; 0x77eef66c
	.long	3748705813                      ; 0xdf70b615
	;; [unrolled: 1-line block ×7, first 2 shown]
	.long	681020485                       ; 0x28978c45
	.long	4044713962                      ; 0xf1156fea
	.long	2443109893                      ; 0x919ee605
	;; [unrolled: 1-line block ×4, first 2 shown]
	.long	820410567                       ; 0x30e678c7
	.long	601527649                       ; 0x23da9561
	.long	1007603132                      ; 0x3c0ecdbc
	.long	1890290066                      ; 0x70ab8992
	;; [unrolled: 1-line block ×5, first 2 shown]
	.long	960265104                       ; 0x393c7b90
	.long	41870487                        ; 0x27ee497
	.long	2548692624                      ; 0x97e9f690
	.long	1106822080                      ; 0x41f8c3c0
	;; [unrolled: 1-line block ×5, first 2 shown]
	.long	736629379                       ; 0x2be81283
	.long	393081842                       ; 0x176df3f2
	.long	3826516196                      ; 0xe41400e4
	.long	2576499701                      ; 0x999243f5
	;; [unrolled: 1-line block ×8, first 2 shown]
	.long	191805249                       ; 0xb6eb741
	.long	496972334                       ; 0x1d9f322e
	;; [unrolled: 1-line block ×3, first 2 shown]
	.long	1355757111                      ; 0x50cf3637
	.long	3962907313                      ; 0xec352ab1
	.long	396738554                       ; 0x17a5bffa
	.long	2616327935                      ; 0x9bf1feff
	.long	2337227347                      ; 0x8b4f4253
	;; [unrolled: 1-line block ×3, first 2 shown]
	.long	552154011                       ; 0x20e9339b
	.long	3932761947                      ; 0xea692f5b
	.long	1893005585                      ; 0x70d4f911
	;; [unrolled: 1-line block ×4, first 2 shown]
	.long	895507243                       ; 0x35605b2b
	.long	3171160829                      ; 0xbd0412fd
	.long	3333292799                      ; 0xc6ae02ff
	;; [unrolled: 1-line block ×8, first 2 shown]
	.long	505718946                       ; 0x1e24a8a2
	.long	3245448088                      ; 0xc1719b98
	.long	1770588062                      ; 0x6989079e
	;; [unrolled: 1-line block ×14, first 2 shown]
	.long	545651740                       ; 0x2085fc1c
	.long	2873707882                      ; 0xab494d6a
	.long	3252475208                      ; 0xc1dcd548
	.long	979047283                       ; 0x3a5b1373
	.long	862046434                       ; 0x3361c8e2
	.long	167198649                       ; 0x9f73fb9
	.long	654196140                       ; 0x26fe3dac
	.long	771814471                       ; 0x2e00f447
	.long	4201635137                      ; 0xfa6fdd41
	.long	883549156                       ; 0x34a9e3e4
	.long	907871968                       ; 0x361d06e0
	;; [unrolled: 1-line block ×4, first 2 shown]
	.long	2637527083                      ; 0x9d35782b
	.long	3306095271                      ; 0xc50f02a7
	;; [unrolled: 1-line block ×5, first 2 shown]
	.long	117966344                       ; 0x7080608
	.long	1785040579                      ; 0x6a658ec3
	.long	454879400                       ; 0x1b1ce8a8
	.long	3484019450                      ; 0xcfa9eafa
	.long	3806424990                      ; 0xe2e16f9e
	.long	733998186                       ; 0x2bbfec6a
	.long	1623968604                      ; 0x60cbcb5c
	;; [unrolled: 3-line block ×3, first 2 shown]
	.long	3360491537                      ; 0xc84d0811
	.long	3053533585                      ; 0xb6013991
	;; [unrolled: 1-line block ×3, first 2 shown]
	.long	591311873                       ; 0x233eb401
	.long	3541927406                      ; 0xd31d85ee
	.long	1716078578                      ; 0x664947f2
	;; [unrolled: 1-line block ×7, first 2 shown]
	.long	384880529                       ; 0x16f0cf91
	.long	3497622676                      ; 0xd0797c94
	.long	1086566797                      ; 0x40c3b18d
	.long	723804135                       ; 0x2b245fe7
	.long	618916624                       ; 0x24e3eb10
	.long	1008618602                      ; 0x3c1e4c6a
	.long	2816673160                      ; 0xa7e30588
	;; [unrolled: 1-line block ×5, first 2 shown]
	.long	962627614                       ; 0x3960881e
	.long	3072103948                      ; 0xb71c960c
	.long	2910444460                      ; 0xad79dbac
	;; [unrolled: 1-line block ×3, first 2 shown]
	.long	902990902                       ; 0x35d28c36
	.long	126319837                       ; 0x7877cdd
	.long	2155412848                      ; 0x8078fd70
	.long	337119596                       ; 0x1418096c
	.long	3978575748                      ; 0xed243f84
	.long	4254301999                      ; 0xfd937f2f
	;; [unrolled: 1-line block ×3, first 2 shown]
	.long	426191419                       ; 0x19672a3b
	.long	3471778695                      ; 0xceef2387
	.long	2446138116                      ; 0x91cd1b04
	;; [unrolled: 1-line block ×16, first 2 shown]
	.long	294480880                       ; 0x118d6bf0
	.long	1879451653                      ; 0x70062805
	.long	3168497089                      ; 0xbcdb6dc1
	.long	361311552                       ; 0x15892d40
	.long	3417679321                      ; 0xcbb5a5d9
	.long	2080604411                      ; 0x7c0380fb
	.long	341920668                       ; 0x14614b9c
	.long	507483626                       ; 0x1e3f95ea
	.long	1201669979                      ; 0x47a0075b
	.long	3174274528                      ; 0xbd3395e0
	.long	2012149356                      ; 0x77eef66c
	.long	3748705813                      ; 0xdf70b615
	.long	3375736126                      ; 0xc935a53e
	.long	2857697336                      ; 0xaa550038
	.long	3929686609                      ; 0xea3a4251
	.long	2935748807                      ; 0xaefbf8c7
	.long	3336305747                      ; 0xc6dbfc53
	.long	681020485                       ; 0x28978c45
	.long	4044713962                      ; 0xf1156fea
	.long	405011299                       ; 0x1823fb63
	.long	2862982895                      ; 0xaaa5a6ef
	.long	2578353596                      ; 0x99ae8dbc
	.long	820410567                       ; 0x30e678c7
	.long	601527649                       ; 0x23da9561
	.long	4281957726                      ; 0xff397d5e
	.long	1890290066                      ; 0x70ab8992
	;; [unrolled: 1-line block ×6, first 2 shown]
	.long	41870487                        ; 0x27ee497
	.long	2548692624                      ; 0x97e9f690
	.long	1106822080                      ; 0x41f8c3c0
	;; [unrolled: 1-line block ×5, first 2 shown]
	.long	736629379                       ; 0x2be81283
	.long	393081842                       ; 0x176df3f2
	.long	3826516196                      ; 0xe41400e4
	.long	3225163595                      ; 0xc03c174b
	;; [unrolled: 1-line block ×8, first 2 shown]
	.long	191805249                       ; 0xb6eb741
	.long	496972334                       ; 0x1d9f322e
	.long	830265621                       ; 0x317cd915
	.long	4293577013                      ; 0xffeac935
	.long	3962907313                      ; 0xec352ab1
	.long	396738554                       ; 0x17a5bffa
	.long	2616327935                      ; 0x9bf1feff
	.long	2337227347                      ; 0x8b4f4253
	;; [unrolled: 1-line block ×3, first 2 shown]
	.long	552154011                       ; 0x20e9339b
	.long	3932761947                      ; 0xea692f5b
	.long	1893005585                      ; 0x70d4f911
	;; [unrolled: 1-line block ×4, first 2 shown]
	.long	895507243                       ; 0x35605b2b
	.long	3171160829                      ; 0xbd0412fd
	.long	3333292799                      ; 0xc6ae02ff
	;; [unrolled: 1-line block ×10, first 2 shown]
	.long	247565591                       ; 0xec18d17
	.long	953356243                       ; 0x38d30fd3
	.long	4103354183                      ; 0xf4943747
	.long	1908418768                      ; 0x71c028d0
	;; [unrolled: 1-line block ×6, first 2 shown]
	.long	557880278                       ; 0x214093d6
	.long	2499771815                      ; 0x94ff7da7
	.long	2618380525                      ; 0x9c1150ed
	.long	732785004                       ; 0x2bad696c
	.long	1414011135                      ; 0x544818ff
	.long	2858311749                      ; 0xaa5e6045
	;; [unrolled: 1-line block ×4, first 2 shown]
	.long	645476041                       ; 0x26792ec9
	.long	683035653                       ; 0x28b64c05
	.long	4079609082                      ; 0xf329e4fa
	.long	2404111028                      ; 0x8f4bd2b4
	;; [unrolled: 1-line block ×9, first 2 shown]
	.long	541389178                       ; 0x2044f17a
	.long	1103876446                      ; 0x41cbd15e
	.long	2549442278                      ; 0x97f566e6
	;; [unrolled: 1-line block ×4, first 2 shown]
	.long	523610761                       ; 0x1f35aa89
	.long	3889482885                      ; 0xe7d4cc85
	.long	3080739216                      ; 0xb7a05990
	;; [unrolled: 1-line block ×4, first 2 shown]
	.long	63567637                        ; 0x3c9f715
	.long	1520176098                      ; 0x5a9c0be2
	.long	1741685274                      ; 0x67d0021a
	;; [unrolled: 1-line block ×4, first 2 shown]
	.long	517809884                       ; 0x1edd26dc
	.long	2653145241                      ; 0x9e23c899
	.long	868296581                       ; 0x33c12785
	.long	646514407                       ; 0x268906e7
	.long	3166145188                      ; 0xbcb78aa4
	.long	3023629813                      ; 0xb438edf5
	;; [unrolled: 1-line block ×6, first 2 shown]
	.long	445460259                       ; 0x1a8d2f23
	.long	2682093551                      ; 0x9fdd7fef
	.long	3655100102                      ; 0xd9dc66c6
	;; [unrolled: 1-line block ×5, first 2 shown]
	.long	755397374                       ; 0x2d0672fe
	.long	1912970603                      ; 0x72059d6b
	.long	396253754                       ; 0x179e5a3a
	.long	4260038354                      ; 0xfdeb06d2
	.long	1530898510                      ; 0x5b3fa84e
	;; [unrolled: 1-line block ×6, first 2 shown]
	.long	553869167                       ; 0x21035f6f
	.long	3162483580                      ; 0xbc7fab7c
	.long	1611891352                      ; 0x60138298
	.long	248738605                       ; 0xed3732d
	.long	3403092967                      ; 0xcad713e7
	.long	2194464420                      ; 0x82ccdea4
	;; [unrolled: 3-line block ×3, first 2 shown]
	.long	2397481985                      ; 0x8ee6ac01
	.long	2866414964                      ; 0xaada0574
	;; [unrolled: 1-line block ×4, first 2 shown]
	.long	762034588                       ; 0x2d6bb99c
	.long	2679383682                      ; 0x9fb42682
	.long	1848516655                      ; 0x6e2e202f
	;; [unrolled: 1-line block ×9, first 2 shown]
	.long	966205413                       ; 0x39971fe5
	.long	3897281091                      ; 0xe84bca43
	.long	2148139678                      ; 0x800a029e
	.long	2690229390                      ; 0xa059a48e
	.long	427450194                       ; 0x197a5f52
	.long	3516115778                      ; 0xd193ab42
	.long	1864991059                      ; 0x6f298153
	.long	134448489                       ; 0x8038569
	.long	3397232480                      ; 0xca7da760
	.long	3999530682                      ; 0xee63feba
	;; [unrolled: 1-line block ×5, first 2 shown]
	.long	134554462                       ; 0x805235e
	.long	3447324105                      ; 0xcd79fdc9
	.long	86678510                        ; 0x52a9bee
	.long	1656551206                      ; 0x62bcf726
	.long	2844494044                      ; 0xa98b88dc
	;; [unrolled: 1-line block ×6, first 2 shown]
	.long	462585182                       ; 0x1b927d5e
	.long	1922457093                      ; 0x72965e05
	.long	3035264235                      ; 0xb4ea74eb
	;; [unrolled: 1-line block ×7, first 2 shown]
	.long	290683210                       ; 0x1153794a
	.long	2465427488                      ; 0x92f37020
	.long	3504862176                      ; 0xd0e7f3e0
	.long	793156806                       ; 0x2f469cc6
	.long	1722326752                      ; 0x66a89ee0
	.long	2706215067                      ; 0xa14d909b
	.long	3818976191                      ; 0xe3a0f3bf
	.long	2007064241                      ; 0x77a15eb1
	.long	552144413                       ; 0x20e90e1d
	.long	2692866408                      ; 0xa081e168
	.long	3975075075                      ; 0xeceed503
	;; [unrolled: 5-line block ×3, first 2 shown]
	.long	1343778249                      ; 0x50186dc9
	.long	912185207                       ; 0x365ed777
	.long	127278206                       ; 0x7961c7e
	.long	4168930635                      ; 0xf87cd54b
	.long	340393978                       ; 0x1449fffa
	.long	65814528                        ; 0x3ec4000
	.long	2552086271                      ; 0x981dbeff
	.long	2507474816                      ; 0x95750780
	;; [unrolled: 1-line block ×13, first 2 shown]
	.long	883516842                       ; 0x34a965aa
	.long	2077853840                      ; 0x7bd98890
	.long	229484673                       ; 0xdada881
	.long	448889887                       ; 0x1ac1841f
	.long	3508620909                      ; 0xd1214e6d
	.long	4164289950                      ; 0xf836059e
	.long	155254859                       ; 0x941004b
	.long	298319697                       ; 0x11c7ff51
	;; [unrolled: 1-line block ×3, first 2 shown]
	.long	3500794888                      ; 0xd0a9e408
	.long	3974907245                      ; 0xecec456d
	.long	682778656                       ; 0x28b26020
	.long	382798811                       ; 0x16d10bdb
	.long	1500342771                      ; 0x596d69f3
	.long	3942535492                      ; 0xeafe5144
	;; [unrolled: 1-line block ×4, first 2 shown]
	.long	561192171                       ; 0x21731ceb
	.long	4046277638                      ; 0xf12d4c06
	.long	840733718                       ; 0x321c9416
	.long	1694555864                      ; 0x6500ded8
	;; [unrolled: 2-line block ×3, first 2 shown]
	.long	2525929010                      ; 0x968e9e32
	.long	386794637                       ; 0x170e048d
	.long	349755829                       ; 0x14d8d9b5
	.long	2959959729                      ; 0xb06d66b1
	.long	686974318                       ; 0x28f2656e
	.long	3243688353                      ; 0xc156c1a1
	.long	3911051908                      ; 0xe91dea84
	;; [unrolled: 1-line block ×3, first 2 shown]
	.long	441833800                       ; 0x1a55d948
	.long	3164548257                      ; 0xbc9f2ca1
	.long	584185450                       ; 0x22d1f66a
	.long	450132281                       ; 0x1ad47939
	.long	3528356519                      ; 0xd24e72a7
	.long	4275666503                      ; 0xfed97e47
	;; [unrolled: 1-line block ×3, first 2 shown]
	.long	817077137                       ; 0x30b39b91
	.long	2945430988                      ; 0xaf8fb5cc
	.long	1532878265                      ; 0x5b5dddb9
	;; [unrolled: 1-line block ×12, first 2 shown]
	.long	860301545                       ; 0x334728e9
	.long	1590934964                      ; 0x5ed3bdb4
	.long	3371591516                      ; 0xc8f6675c
	;; [unrolled: 1-line block ×4, first 2 shown]
	.long	907316453                       ; 0x36148ce5
	.long	3541736952                      ; 0xd31a9df8
	.long	3572719697                      ; 0xd4f36051
	.long	278602945                       ; 0x109b24c1
	.long	4257620354                      ; 0xfdc62182
	.long	3396349537                      ; 0xca702e61
	;; [unrolled: 1-line block ×3, first 2 shown]
	.long	191271983                       ; 0xb66942f
	.long	2974056951                      ; 0xb14481f7
	.long	2743594803                      ; 0xa387ef33
	;; [unrolled: 1-line block ×3, first 2 shown]
	.long	815666748                       ; 0x309e163c
	.long	920991498                       ; 0x36e5370a
	;; [unrolled: 1-line block ×3, first 2 shown]
	.long	2008325469                      ; 0x77b49d5d
	.long	1548504646                      ; 0x5c4c4e46
	;; [unrolled: 1-line block ×3, first 2 shown]
	.long	993523345                       ; 0x3b37f691
	.long	1171349070                      ; 0x45d15e4e
	.long	4105576982                      ; 0xf4b62216
	;; [unrolled: 1-line block ×13, first 2 shown]
	.long	849777796                       ; 0x32a69484
	.long	4219173763                      ; 0xfb7b7b83
	.long	694869701                       ; 0x296adec5
	.long	1297370017                      ; 0x4d544ba1
	.long	3573985711                      ; 0xd506b1af
	;; [unrolled: 1-line block ×4, first 2 shown]
	.long	400850360                       ; 0x17e47db8
	.long	909653264                       ; 0x36383510
	.long	1496585542                      ; 0x59341546
	.long	460982606                       ; 0x1b7a094e
	.long	828640603                       ; 0x31640d5b
	.long	3993062500                      ; 0xee014c64
	.long	2145047281                      ; 0x7fdad2f1
	;; [unrolled: 1-line block ×3, first 2 shown]
	.long	912583500                       ; 0x3664eb4c
	.long	1234319994                      ; 0x49923a7a
	.long	4276951314                      ; 0xfeed1912
	.long	485282908                       ; 0x1cecd45c
	.long	1903750880                      ; 0x7178eee0
	.long	1667769214                      ; 0x6368237e
	;; [unrolled: 1-line block ×5, first 2 shown]
	.long	627857875                       ; 0x256c59d3
	.long	436470402                       ; 0x1a040282
	.long	1753727232                      ; 0x6887c100
	.long	50241405                        ; 0x2fe9f7d
	.long	206782941                       ; 0xc5341dd
	.long	612110492                       ; 0x247c109c
	;; [unrolled: 1-line block ×3, first 2 shown]
	.long	2567547031                      ; 0x9909a897
	.long	3360482779                      ; 0xc84ce5db
	.long	820704062                       ; 0x30eaf33e
	.long	412722485                       ; 0x1899a535
	.long	2044763466                      ; 0x79e09d4a
	.long	1915626743                      ; 0x722e24f7
	;; [unrolled: 1-line block ×4, first 2 shown]
	.long	53587450                        ; 0x331adfa
	.long	2457122208                      ; 0x9274b5a0
	.long	1397065983                      ; 0x534588ff
	;; [unrolled: 1-line block ×5, first 2 shown]
	.long	699377793                       ; 0x29afa881
	.long	157099022                       ; 0x95d240e
	.long	2792298089                      ; 0xa66f1669
	.long	3927835437                      ; 0xea1e032d
	;; [unrolled: 1-line block ×8, first 2 shown]
	.long	923451748                       ; 0x370ac164
	.long	3665432731                      ; 0xda7a109b
	.long	1577970518                      ; 0x5e0deb56
	;; [unrolled: 1-line block ×8, first 2 shown]
	.long	930842061                       ; 0x377b85cd
	.long	3816331201                      ; 0xe37897c1
	.long	1624573114                      ; 0x60d504ba
	;; [unrolled: 1-line block ×4, first 2 shown]
	.long	945407897                       ; 0x3859c799
	.long	63630679                        ; 0x3caed57
	.long	1852369563                      ; 0x6e68ea9b
	.long	971772965                       ; 0x39ec1425
	.long	2229069035                      ; 0x84dce4eb
	.long	2320405193                      ; 0x8a4e92c9
	;; [unrolled: 1-line block ×4, first 2 shown]
	.long	448889887                       ; 0x1ac1841f
	.long	3508620909                      ; 0xd1214e6d
	.long	4164289950                      ; 0xf836059e
	.long	155254859                       ; 0x941004b
	.long	3157319819                      ; 0xbc30e08b
	.long	980080883                       ; 0x3a6ad8f3
	.long	3500794888                      ; 0xd0a9e408
	.long	3974907245                      ; 0xecec456d
	.long	682778656                       ; 0x28b26020
	.long	3201604042                      ; 0xbed499ca
	.long	1500342771                      ; 0x596d69f3
	;; [unrolled: 1-line block ×7, first 2 shown]
	.long	840733718                       ; 0x321c9416
	.long	1694555864                      ; 0x6500ded8
	.long	241216466                       ; 0xe60abd2
	.long	2728337326                      ; 0xa29f1fae
	.long	2525929010                      ; 0x968e9e32
	.long	386794637                       ; 0x170e048d
	.long	349755829                       ; 0x14d8d9b5
	.long	2959959729                      ; 0xb06d66b1
	.long	20820947                        ; 0x13db3d3
	.long	3243688353                      ; 0xc156c1a1
	.long	3911051908                      ; 0xe91dea84
	;; [unrolled: 1-line block ×3, first 2 shown]
	.long	441833800                       ; 0x1a55d948
	.long	4143649787                      ; 0xf6fb13fb
	.long	584185450                       ; 0x22d1f66a
	.long	450132281                       ; 0x1ad47939
	.long	3528356519                      ; 0xd24e72a7
	.long	4275666503                      ; 0xfed97e47
	.long	3541347868                      ; 0xd314ae1c
	.long	817077137                       ; 0x30b39b91
	.long	2945430988                      ; 0xaf8fb5cc
	.long	1532878265                      ; 0x5b5dddb9
	;; [unrolled: 1-line block ×8, first 2 shown]
	.long	958085276                       ; 0x391b389c
	.long	3896025436                      ; 0xe838a15c
	.long	2349200248                      ; 0x8c05f378
	;; [unrolled: 1-line block ×3, first 2 shown]
	.long	860301545                       ; 0x334728e9
	.long	1701089635                      ; 0x65649163
	.long	3371591516                      ; 0xc8f6675c
	;; [unrolled: 1-line block ×4, first 2 shown]
	.long	907316453                       ; 0x36148ce5
	.long	1529987826                      ; 0x5b31c2f2
	.long	3572719697                      ; 0xd4f36051
	.long	278602945                       ; 0x109b24c1
	.long	4257620354                      ; 0xfdc62182
	.long	3396349537                      ; 0xca702e61
	;; [unrolled: 1-line block ×3, first 2 shown]
	.long	191271983                       ; 0xb66942f
	.long	2974056951                      ; 0xb14481f7
	.long	2743594803                      ; 0xa387ef33
	;; [unrolled: 1-line block ×4, first 2 shown]
	.long	920991498                       ; 0x36e5370a
	.long	187861899                       ; 0xb328b8b
	.long	2008325469                      ; 0x77b49d5d
	.long	1548504646                      ; 0x5c4c4e46
	.long	100038488                       ; 0x5f67758
	.long	993523345                       ; 0x3b37f691
	.long	1171349070                      ; 0x45d15e4e
	.long	4105576982                      ; 0xf4b62216
	;; [unrolled: 1-line block ×15, first 2 shown]
	.long	694869701                       ; 0x296adec5
	.long	1297370017                      ; 0x4d544ba1
	.long	3573985711                      ; 0xd506b1af
	;; [unrolled: 1-line block ×4, first 2 shown]
	.long	400850360                       ; 0x17e47db8
	.long	909653264                       ; 0x36383510
	.long	1496585542                      ; 0x59341546
	.long	1738256576                      ; 0x679bb0c0
	.long	828640603                       ; 0x31640d5b
	.long	3993062500                      ; 0xee014c64
	.long	2145047281                      ; 0x7fdad2f1
	;; [unrolled: 1-line block ×6, first 2 shown]
	.long	485282908                       ; 0x1cecd45c
	.long	1903750880                      ; 0x7178eee0
	.long	746205619                       ; 0x2c7a31b3
	.long	3950976882                      ; 0xeb7f1f72
	.long	3711912938                      ; 0xdd3f4bea
	;; [unrolled: 1-line block ×3, first 2 shown]
	.long	627857875                       ; 0x256c59d3
	.long	954627753                       ; 0x38e676a9
	.long	1753727232                      ; 0x6887c100
	.long	50241405                        ; 0x2fe9f7d
	.long	206782941                       ; 0xc5341dd
	.long	612110492                       ; 0x247c109c
	.long	2251018875                      ; 0x862bd27b
	.long	2567547031                      ; 0x9909a897
	;; [unrolled: 1-line block ×3, first 2 shown]
	.long	820704062                       ; 0x30eaf33e
	.long	412722485                       ; 0x1899a535
	.long	2120077037                      ; 0x7e5dceed
	.long	1915626743                      ; 0x722e24f7
	;; [unrolled: 1-line block ×4, first 2 shown]
	.long	53587450                        ; 0x331adfa
	.long	2696843657                      ; 0xa0be9189
	.long	1397065983                      ; 0x534588ff
	;; [unrolled: 1-line block ×6, first 2 shown]
	.long	157099022                       ; 0x95d240e
	.long	2792298089                      ; 0xa66f1669
	.long	3927835437                      ; 0xea1e032d
	;; [unrolled: 1-line block ×3, first 2 shown]
	.long	730099534                       ; 0x2b846f4e
	.long	2740420278                      ; 0xa3577eb6
	.long	2518077381                      ; 0x9616cfc5
	;; [unrolled: 1-line block ×13, first 2 shown]
	.long	930842061                       ; 0x377b85cd
	.long	3140947362                      ; 0xbb370da2
	.long	1624573114                      ; 0x60d504ba
	;; [unrolled: 1-line block ×4, first 2 shown]
	.long	945407897                       ; 0x3859c799
	.long	1282799903                      ; 0x4c75f91f
	.long	1852369563                      ; 0x6e68ea9b
	.long	971772965                       ; 0x39ec1425
	.long	2229069035                      ; 0x84dce4eb
	.long	2320405193                      ; 0x8a4e92c9
	.long	670134249                       ; 0x27f16fe9
	.long	1666937976                      ; 0x635b7478
	.long	448889887                       ; 0x1ac1841f
	.long	3508620909                      ; 0xd1214e6d
	.long	4164289950                      ; 0xf836059e
	.long	127045110                       ; 0x7928df6
	.long	3157319819                      ; 0xbc30e08b
	.long	980080883                       ; 0x3a6ad8f3
	.long	3500794888                      ; 0xd0a9e408
	.long	3974907245                      ; 0xecec456d
	;; [unrolled: 1-line block ×7, first 2 shown]
	.long	306788856                       ; 0x124939f8
	.long	3235144326                      ; 0xc0d46286
	.long	4046277638                      ; 0xf12d4c06
	.long	840733718                       ; 0x321c9416
	.long	1694555864                      ; 0x6500ded8
	.long	2260304655                      ; 0x86b9830f
	;; [unrolled: 1-line block ×4, first 2 shown]
	.long	386794637                       ; 0x170e048d
	.long	349755829                       ; 0x14d8d9b5
	.long	3842816805                      ; 0xe50cbb25
	.long	20820947                        ; 0x13db3d3
	.long	3243688353                      ; 0xc156c1a1
	.long	3911051908                      ; 0xe91dea84
	;; [unrolled: 1-line block ×5, first 2 shown]
	.long	584185450                       ; 0x22d1f66a
	.long	450132281                       ; 0x1ad47939
	.long	3528356519                      ; 0xd24e72a7
	.long	550401017                       ; 0x20ce73f9
	.long	3541347868                      ; 0xd314ae1c
	.long	817077137                       ; 0x30b39b91
	.long	2945430988                      ; 0xaf8fb5cc
	.long	1532878265                      ; 0x5b5dddb9
	.long	1045681234                      ; 0x3e53d452
	;; [unrolled: 1-line block ×7, first 2 shown]
	.long	958085276                       ; 0x391b389c
	.long	3896025436                      ; 0xe838a15c
	.long	2349200248                      ; 0x8c05f378
	;; [unrolled: 1-line block ×11, first 2 shown]
	.long	278602945                       ; 0x109b24c1
	.long	4257620354                      ; 0xfdc62182
	.long	2479560493                      ; 0x93cb172d
	;; [unrolled: 1-line block ×3, first 2 shown]
	.long	191271983                       ; 0xb66942f
	.long	2974056951                      ; 0xb14481f7
	.long	2743594803                      ; 0xa387ef33
	.long	4081110580                      ; 0xf340ce34
	.long	4255116655                      ; 0xfd9fed6f
	.long	920991498                       ; 0x36e5370a
	.long	187861899                       ; 0xb328b8b
	.long	2008325469                      ; 0x77b49d5d
	.long	1300371976                      ; 0x4d821a08
	.long	100038488                       ; 0x5f67758
	.long	993523345                       ; 0x3b37f691
	.long	1171349070                      ; 0x45d15e4e
	.long	4105576982                      ; 0xf4b62216
	;; [unrolled: 1-line block ×7, first 2 shown]
	.long	207153762                       ; 0xc58ea62
	.long	3644225670                      ; 0xd9367886
	.long	2831224398                      ; 0xa8c10e4e
	;; [unrolled: 1-line block ×4, first 2 shown]
	.long	916783095                       ; 0x36a4fff7
	.long	1292003378                      ; 0x4d026832
	.long	4219173763                      ; 0xfb7b7b83
	.long	694869701                       ; 0x296adec5
	.long	1297370017                      ; 0x4d544ba1
	.long	3388725608                      ; 0xc9fbd968
	.long	2510138592                      ; 0x959dace0
	.long	3680794431                      ; 0xdb64773f
	.long	400850360                       ; 0x17e47db8
	.long	909653264                       ; 0x36383510
	.long	2421730678                      ; 0x9058ad76
	.long	1738256576                      ; 0x679bb0c0
	.long	828640603                       ; 0x31640d5b
	.long	3993062500                      ; 0xee014c64
	.long	2145047281                      ; 0x7fdad2f1
	;; [unrolled: 1-line block ×6, first 2 shown]
	.long	485282908                       ; 0x1cecd45c
	.long	4002661777                      ; 0xee93c591
	.long	746205619                       ; 0x2c7a31b3
	.long	3950976882                      ; 0xeb7f1f72
	.long	3711912938                      ; 0xdd3f4bea
	;; [unrolled: 1-line block ×4, first 2 shown]
	.long	954627753                       ; 0x38e676a9
	.long	1753727232                      ; 0x6887c100
	.long	50241405                        ; 0x2fe9f7d
	.long	206782941                       ; 0xc5341dd
	.long	460314337                       ; 0x1b6fd6e1
	.long	2251018875                      ; 0x862bd27b
	.long	2567547031                      ; 0x9909a897
	;; [unrolled: 1-line block ×3, first 2 shown]
	.long	820704062                       ; 0x30eaf33e
	.long	1339598718                      ; 0x4fd8a77e
	.long	2120077037                      ; 0x7e5dceed
	;; [unrolled: 1-line block ×5, first 2 shown]
	.long	660730207                       ; 0x2761f15f
	.long	2696843657                      ; 0xa0be9189
	.long	1397065983                      ; 0x534588ff
	;; [unrolled: 1-line block ×4, first 2 shown]
	.long	126840648                       ; 0x78f6f48
	.long	3308142895                      ; 0xc52e412f
	.long	157099022                       ; 0x95d240e
	.long	2792298089                      ; 0xa66f1669
	.long	3927835437                      ; 0xea1e032d
	;; [unrolled: 1-line block ×3, first 2 shown]
	.long	730099534                       ; 0x2b846f4e
	.long	2740420278                      ; 0xa3577eb6
	.long	2518077381                      ; 0x9616cfc5
	;; [unrolled: 1-line block ×8, first 2 shown]
	.long	832572764                       ; 0x31a00d5c
	.long	2987545029                      ; 0xb21251c5
	.long	1632232822                      ; 0x6149e576
	;; [unrolled: 1-line block ×12, first 2 shown]
	.long	971772965                       ; 0x39ec1425
	.long	2229069035                      ; 0x84dce4eb
	.long	3735782785                      ; 0xdeab8581
	.long	670134249                       ; 0x27f16fe9
	.long	1666937976                      ; 0x635b7478
	.long	448889887                       ; 0x1ac1841f
	.long	3508620909                      ; 0xd1214e6d
	.long	3681408470                      ; 0xdb6dd5d6
	.long	127045110                       ; 0x7928df6
	.long	3157319819                      ; 0xbc30e08b
	.long	980080883                       ; 0x3a6ad8f3
	.long	3500794888                      ; 0xd0a9e408
	.long	3967872553                      ; 0xec80ee29
	.long	2740953010                      ; 0xa35f9fb2
	.long	3201604042                      ; 0xbed499ca
	.long	1500342771                      ; 0x596d69f3
	.long	3942535492                      ; 0xeafe5144
	.long	613854690                       ; 0x2496ade2
	.long	306788856                       ; 0x124939f8
	.long	3235144326                      ; 0xc0d46286
	.long	4046277638                      ; 0xf12d4c06
	.long	840733718                       ; 0x321c9416
	.long	3957877023                      ; 0xebe8691f
	.long	2260304655                      ; 0x86b9830f
	;; [unrolled: 1-line block ×4, first 2 shown]
	.long	386794637                       ; 0x170e048d
	.long	1779451936                      ; 0x6a104820
	.long	3842816805                      ; 0xe50cbb25
	.long	20820947                        ; 0x13db3d3
	.long	3243688353                      ; 0xc156c1a1
	.long	3911051908                      ; 0xe91dea84
	.long	688470429                       ; 0x2909399d
	.long	3398227861                      ; 0xca8cd795
	.long	4143649787                      ; 0xf6fb13fb
	.long	584185450                       ; 0x22d1f66a
	.long	450132281                       ; 0x1ad47939
	.long	3381050556                      ; 0xc986bcbc
	.long	550401017                       ; 0x20ce73f9
	.long	3541347868                      ; 0xd314ae1c
	;; [unrolled: 2-line block ×3, first 2 shown]
	.long	1859551669                      ; 0x6ed681b5
	.long	1045681234                      ; 0x3e53d452
	.long	3199458552                      ; 0xbeb3dcf8
	.long	1419611574                      ; 0x549d8db6
	.long	1245233100                      ; 0x4a38bfcc
	.long	53681099                        ; 0x3331bcb
	.long	1153297031                      ; 0x44bdea87
	.long	958085276                       ; 0x391b389c
	.long	3896025436                      ; 0xe838a15c
	.long	2349200248                      ; 0x8c05f378
	;; [unrolled: 1-line block ×11, first 2 shown]
	.long	278602945                       ; 0x109b24c1
	.long	46913829                        ; 0x2cbd925
	.long	2479560493                      ; 0x93cb172d
	.long	4120000342                      ; 0xf5923756
	.long	191271983                       ; 0xb66942f
	.long	2974056951                      ; 0xb14481f7
	.long	1361976701                      ; 0x512e1d7d
	;; [unrolled: 1-line block ×4, first 2 shown]
	.long	920991498                       ; 0x36e5370a
	.long	187861899                       ; 0xb328b8b
	.long	1237191391                      ; 0x49be0adf
	.long	1300371976                      ; 0x4d821a08
	.long	100038488                       ; 0x5f67758
	.long	993523345                       ; 0x3b37f691
	.long	1171349070                      ; 0x45d15e4e
	.long	3168325479                      ; 0xbcd8cf67
	;; [unrolled: 1-line block ×7, first 2 shown]
	.long	207153762                       ; 0xc58ea62
	.long	3644225670                      ; 0xd9367886
	.long	2831224398                      ; 0xa8c10e4e
	;; [unrolled: 1-line block ×4, first 2 shown]
	.long	916783095                       ; 0x36a4fff7
	.long	1292003378                      ; 0x4d026832
	.long	4219173763                      ; 0xfb7b7b83
	.long	694869701                       ; 0x296adec5
	.long	4150182218                      ; 0xf75ec14a
	.long	3388725608                      ; 0xc9fbd968
	;; [unrolled: 1-line block ×4, first 2 shown]
	.long	400850360                       ; 0x17e47db8
	.long	654034492                       ; 0x26fbc63c
	.long	2421730678                      ; 0x9058ad76
	.long	1738256576                      ; 0x679bb0c0
	.long	828640603                       ; 0x31640d5b
	.long	3993062500                      ; 0xee014c64
	.long	84735560                        ; 0x50cf648
	.long	2123619770                      ; 0x7e93ddba
	.long	3478998519                      ; 0xcf5d4df7
	;; [unrolled: 1-line block ×6, first 2 shown]
	.long	746205619                       ; 0x2c7a31b3
	.long	3950976882                      ; 0xeb7f1f72
	.long	3711912938                      ; 0xdd3f4bea
	.long	426068544                       ; 0x19654a40
	.long	1230937254                      ; 0x495e9ca6
	.long	954627753                       ; 0x38e676a9
	.long	1753727232                      ; 0x6887c100
	.long	50241405                        ; 0x2fe9f7d
	.long	589286339                       ; 0x231fcbc3
	.long	460314337                       ; 0x1b6fd6e1
	.long	2251018875                      ; 0x862bd27b
	.long	2567547031                      ; 0x9909a897
	;; [unrolled: 1-line block ×9, first 2 shown]
	.long	660730207                       ; 0x2761f15f
	.long	2696843657                      ; 0xa0be9189
	.long	1397065983                      ; 0x534588ff
	;; [unrolled: 1-line block ×4, first 2 shown]
	.long	126840648                       ; 0x78f6f48
	.long	3308142895                      ; 0xc52e412f
	.long	157099022                       ; 0x95d240e
	.long	2792298089                      ; 0xa66f1669
	.long	485214530                       ; 0x1cebc942
	.long	2192535935                      ; 0x82af717f
	.long	730099534                       ; 0x2b846f4e
	.long	2740420278                      ; 0xa3577eb6
	.long	2518077381                      ; 0x9616cfc5
	.long	418832171                       ; 0x18f6df2b
	.long	1879512787                      ; 0x700716d3
	.long	2126745526                      ; 0x7ec38fb6
	.long	3665432731                      ; 0xda7a109b
	.long	1577970518                      ; 0x5e0deb56
	.long	721018                          ; 0xb007a
	.long	832572764                       ; 0x31a00d5c
	.long	2987545029                      ; 0xb21251c5
	.long	1632232822                      ; 0x6149e576
	;; [unrolled: 1-line block ×12, first 2 shown]
	.long	971772965                       ; 0x39ec1425
	.long	2160782957                      ; 0x80caee6d
	.long	105464019                       ; 0x64940d3
	.long	2131462864                      ; 0x7f0b8ad0
	;; [unrolled: 2-line block ×3, first 2 shown]
	.long	1374396416                      ; 0x51eba000
	.long	4269753677                      ; 0xfe7f454d
	.long	1984596635                      ; 0x764a8a9b
	.long	37563880                        ; 0x23d2de8
	.long	3956352262                      ; 0xebd12506
	.long	2168603656                      ; 0x81424408
	.long	311623712                       ; 0x12930020
	.long	1593371323                      ; 0x5ef8eabb
	.long	351020595                       ; 0x14ec2633
	.long	3439337532                      ; 0xcd00203c
	.long	3130874657                      ; 0xba9d5b21
	;; [unrolled: 1-line block ×3, first 2 shown]
	.long	695789539                       ; 0x2978e7e3
	.long	609797513                       ; 0x2458c589
	.long	53642143                        ; 0x332839f
	.long	1479027519                      ; 0x58282b3f
	.long	1588831722                      ; 0x5eb3a5ea
	.long	262810641                       ; 0xfaa2c11
	.long	3418379977                      ; 0xcbc056c9
	.long	530167431                       ; 0x1f99b687
	.long	1962487963                      ; 0x74f9309b
	.long	2410103328                      ; 0x8fa74220
	;; [unrolled: 1-line block ×22, first 2 shown]
	.long	452731958                       ; 0x1afc2436
	.long	2983755220                      ; 0xb1d87dd4
	.long	1674750403                      ; 0x63d2a9c3
	;; [unrolled: 1-line block ×6, first 2 shown]
	.long	669573402                       ; 0x27e8e11a
	.long	1824298084                      ; 0x6cbc9464
	.long	22336337                        ; 0x154d351
	.long	3366446304                      ; 0xc8a7e4e0
	.long	1536043612                      ; 0x5b8e2a5c
	;; [unrolled: 1-line block ×6, first 2 shown]
	.long	716832039                       ; 0x2ab9fd27
	.long	4286149460                      ; 0xff797354
	.long	814849965                       ; 0x30919fad
	.long	4239224908                      ; 0xfcad704c
	.long	2453627262                      ; 0x923f617e
	.long	976385355                       ; 0x3a32754b
	.long	1846129423                      ; 0x6e09b30f
	.long	52096201                        ; 0x31aecc9
	.long	88835472                        ; 0x54b8590
	.long	2621770794                      ; 0x9c450c2a
	.long	2491757130                      ; 0x9485324a
	;; [unrolled: 1-line block ×3, first 2 shown]
	.long	576668065                       ; 0x225f41a1
	.long	2186701850                      ; 0x82566c1a
	.long	3357019214                      ; 0xc8180c4e
	.long	442191324                       ; 0x1a5b4ddc
	.long	3662645846                      ; 0xda4f8a56
	.long	3653766782                      ; 0xd9c80e7e
	;; [unrolled: 1-line block ×13, first 2 shown]
	.long	221661496                       ; 0xd364938
	.long	3246988243                      ; 0xc1891bd3
	.long	2718455491                      ; 0xa20856c3
	.long	483517148                       ; 0x1cd1e2dc
	.long	4181332651                      ; 0xf93a12ab
	.long	1143646375                      ; 0x442aa8a7
	;; [unrolled: 1-line block ×3, first 2 shown]
	.long	331164544                       ; 0x13bd2b80
	.long	539836322                       ; 0x202d3fa2
	.long	3485371630                      ; 0xcfbe8cee
	.long	1110077273                      ; 0x422a6f59
	;; [unrolled: 1-line block ×3, first 2 shown]
	.long	145720169                       ; 0x8af8369
	.long	2382276586                      ; 0x8dfea7ea
	.long	4276410795                      ; 0xfee4d9ab
	;; [unrolled: 1-line block ×3, first 2 shown]
	.long	936524156                       ; 0x37d2397c
	.long	15415192                        ; 0xeb3798
	.long	1815949694                      ; 0x6c3d317e
	.long	272696290                       ; 0x104103e2
	.long	1495465483                      ; 0x5922fe0b
	.long	3102030383                      ; 0xb8e53a2f
	;; [unrolled: 1-line block ×4, first 2 shown]
	.long	759699322                       ; 0x2d48177a
	.long	1161486824                      ; 0x453ae1e8
	.long	1146281812                      ; 0x4452df54
	;; [unrolled: 1-line block ×7, first 2 shown]
	.long	209698652                       ; 0xc7fbf5c
	.long	3836657987                      ; 0xe4aec143
	.long	1782152220                      ; 0x6a397c1c
	;; [unrolled: 1-line block ×4, first 2 shown]
	.long	537862234                       ; 0x200f205a
	.long	1696168156                      ; 0x651978dc
	.long	4022607                         ; 0x3d614f
	.long	3642864269                      ; 0xd921b28d
	.long	54404878                        ; 0x33e270e
	.long	2925910542                      ; 0xae65da0e
	.long	3444042482                      ; 0xcd47eaf2
	;; [unrolled: 1-line block ×4, first 2 shown]
	.long	614870298                       ; 0x24a62d1a
	.long	1139082272                      ; 0x43e50420
	.long	3672546472                      ; 0xdae69ca8
	;; [unrolled: 1-line block ×5, first 2 shown]
	.long	380553853                       ; 0x16aeca7d
	.long	750118352                       ; 0x2cb5e5d0
	;; [unrolled: 1-line block ×4, first 2 shown]
	.long	2936846643                      ; 0xaf0cb933
	.long	3460652101                      ; 0xce455c45
	.long	3085496886                      ; 0xb7e8f236
	.long	3734224010                      ; 0xde93bc8a
	.long	523359404                       ; 0x1f31d4ac
	.long	2751912206                      ; 0xa406d90e
	.long	3302219188                      ; 0xc4d3ddb4
	;; [unrolled: 1-line block ×20, first 2 shown]
	.long	787920018                       ; 0x2ef6b492
	.long	695635693                       ; 0x29768eed
	.long	2746034685                      ; 0xa3ad29fd
	.long	2078139227                      ; 0x7bdde35b
	;; [unrolled: 1-line block ×4, first 2 shown]
	.long	449503505                       ; 0x1acae111
	.long	3004993826                      ; 0xb31c9122
	.long	2045843139                      ; 0x79f116c3
	;; [unrolled: 1-line block ×3, first 2 shown]
	.long	148449881                       ; 0x8d92a59
	.long	457819243                       ; 0x1b49c46b
	.long	4089112489                      ; 0xf3bae7a9
	.long	1713441237                      ; 0x662109d5
	;; [unrolled: 1-line block ×5, first 2 shown]
	.long	811825474                       ; 0x30637942
	.long	4089105370                      ; 0xf3bacbda
	.long	708239097                       ; 0x2a36def9
	.long	1494832299                      ; 0x591954ab
	.long	2074902973                      ; 0x7bac81bd
	.long	468898217                       ; 0x1bf2d1a9
	.long	1722559700                      ; 0x66ac2cd4
	.long	2499754488                      ; 0x94ff39f8
	;; [unrolled: 1-line block ×3, first 2 shown]
	.long	650114709                       ; 0x26bff695
	.long	549502184                       ; 0x20c0bce8
	.long	4040463514                      ; 0xf0d4949a
	.long	4228169080                      ; 0xfc04bd78
	;; [unrolled: 1-line block ×6, first 2 shown]
	.long	197348940                       ; 0xbc34e4c
	.long	1669884894                      ; 0x63886bde
	.long	3982326753                      ; 0xed5d7be1
	;; [unrolled: 1-line block ×10, first 2 shown]
	.long	132720476                       ; 0x7e9275c
	.long	3020305599                      ; 0xb40634bf
	.long	154822619                       ; 0x93a67db
	.long	2595474066                      ; 0x9ab3ca92
	.long	1654579304                      ; 0x629ee068
	;; [unrolled: 1-line block ×3, first 2 shown]
	.long	891320674                       ; 0x35207962
	.long	3153502700                      ; 0xbbf6a1ec
	.long	601607977                       ; 0x23dbcf29
	.long	2695457160                      ; 0xa0a96988
	.long	4137981809                      ; 0xf6a49771
	.long	37584248                        ; 0x23d7d78
	.long	1674050253                      ; 0x63c7facd
	.long	1805619463                      ; 0x6b9f9107
	.long	676369068                       ; 0x285092ac
	.long	2294902904                      ; 0x88c97078
	.long	658143166                       ; 0x273a77be
	.long	141452045                       ; 0x86e630d
	.long	2383327493                      ; 0x8e0eb105
	.long	1222336195                      ; 0x48db5ec3
	;; [unrolled: 1-line block ×6, first 2 shown]
	.long	453206569                       ; 0x1b036229
	.long	3190116972                      ; 0xbe25526c
	.long	1480368955                      ; 0x583ca33b
	;; [unrolled: 1-line block ×5, first 2 shown]
	.long	182547022                       ; 0xae1724e
	.long	360165920                       ; 0x1577b220
	.long	3378423016                      ; 0xc95ea4e8
	.long	1443723222                      ; 0x560d77d6
	;; [unrolled: 1-line block ×4, first 2 shown]
	.long	664283285                       ; 0x27982895
	.long	258077235                       ; 0xf61f233
	.long	3071875976                      ; 0xb7191b88
	.long	240688930                       ; 0xe589f22
	.long	988895736                       ; 0x3af159f8
	.long	2965351284                      ; 0xb0bfab74
	.long	91332032                        ; 0x5719dc0
	.long	941306162                       ; 0x381b3132
	.long	2464278288                      ; 0x92e1e710
	.long	3493666272                      ; 0xd03d1de0
	;; [unrolled: 1-line block ×4, first 2 shown]
	.long	24726067                        ; 0x1794a33
	.long	3025656863                      ; 0xb457dc1f
	.long	1343636659                      ; 0x501644b3
	;; [unrolled: 1-line block ×4, first 2 shown]
	.long	461428710                       ; 0x1b80d7e6
	.long	2449005423                      ; 0x91f8db6f
	.long	3220070834                      ; 0xbfee61b2
	;; [unrolled: 1-line block ×3, first 2 shown]
	.long	907095008                       ; 0x36112be0
	.long	428073188                       ; 0x1983e0e4
	.long	1938061314                      ; 0x73847802
	.long	2094361729                      ; 0x7cd56c81
	.long	2570445990                      ; 0x9935e4a6
	.long	346999411                       ; 0x14aeca73
	.long	990247709                       ; 0x3b05fb1d
	.long	1630488660                      ; 0x612f4854
	.long	2574142591                      ; 0x996e4c7f
	;; [unrolled: 1-line block ×7, first 2 shown]
	.long	939392801                       ; 0x37fdff21
	.long	1610069434                      ; 0x5ff7b5ba
	.long	1935303983                      ; 0x735a652f
	;; [unrolled: 1-line block ×6, first 2 shown]
	.long	174125899                       ; 0xa60f34b
	.long	4113855120                      ; 0xf5347290
	.long	2449365101                      ; 0x91fe586d
	;; [unrolled: 1-line block ×9, first 2 shown]
	.long	388172915                       ; 0x17230c73
	.long	1125615727                      ; 0x4317886f
	.long	881693338                       ; 0x348d929a
	.long	3313110562                      ; 0xc57a0e22
	.long	859388069                       ; 0x333938a5
	.long	177786360                       ; 0xa98cdf8
	.long	4134747901                      ; 0xf6733efd
	.long	616417204                       ; 0x24bdc7b4
	.long	2104495620                      ; 0x7d700e04
	.long	783302897                       ; 0x2eb040f1
	.long	512784708                       ; 0x1e907944
	.long	1295821322                      ; 0x4d3caa0a
	.long	3810209448                      ; 0xe31b2ea8
	;; [unrolled: 1-line block ×17, first 2 shown]
	.long	787920018                       ; 0x2ef6b492
	.long	73007125                        ; 0x45a0015
	.long	2746034685                      ; 0xa3ad29fd
	.long	2078139227                      ; 0x7bdde35b
	;; [unrolled: 1-line block ×8, first 2 shown]
	.long	148449881                       ; 0x8d92a59
	.long	3343221736                      ; 0xc74583e8
	.long	4089112489                      ; 0xf3bae7a9
	;; [unrolled: 1-line block ×6, first 2 shown]
	.long	811825474                       ; 0x30637942
	.long	4089105370                      ; 0xf3bacbda
	.long	708239097                       ; 0x2a36def9
	.long	1494832299                      ; 0x591954ab
	.long	2485576001                      ; 0x9426e141
	.long	468898217                       ; 0x1bf2d1a9
	.long	1722559700                      ; 0x66ac2cd4
	.long	2499754488                      ; 0x94ff39f8
	;; [unrolled: 1-line block ×4, first 2 shown]
	.long	549502184                       ; 0x20c0bce8
	.long	4040463514                      ; 0xf0d4949a
	.long	4228169080                      ; 0xfc04bd78
	;; [unrolled: 1-line block ×6, first 2 shown]
	.long	197348940                       ; 0xbc34e4c
	.long	1669884894                      ; 0x63886bde
	.long	3596140613                      ; 0xd658c045
	;; [unrolled: 1-line block ×10, first 2 shown]
	.long	132720476                       ; 0x7e9275c
	.long	344033794                       ; 0x14818a02
	;; [unrolled: 1-line block ×3, first 2 shown]
	.long	2595474066                      ; 0x9ab3ca92
	.long	1654579304                      ; 0x629ee068
	;; [unrolled: 1-line block ×5, first 2 shown]
	.long	601607977                       ; 0x23dbcf29
	.long	2695457160                      ; 0xa0a96988
	.long	4137981809                      ; 0xf6a49771
	;; [unrolled: 1-line block ×5, first 2 shown]
	.long	676369068                       ; 0x285092ac
	.long	2294902904                      ; 0x88c97078
	.long	1583197657                      ; 0x5e5dadd9
	.long	141452045                       ; 0x86e630d
	.long	2383327493                      ; 0x8e0eb105
	.long	1222336195                      ; 0x48db5ec3
	;; [unrolled: 1-line block ×6, first 2 shown]
	.long	453206569                       ; 0x1b036229
	.long	3190116972                      ; 0xbe25526c
	.long	1939413704                      ; 0x73991ac8
	;; [unrolled: 1-line block ×5, first 2 shown]
	.long	182547022                       ; 0xae1724e
	.long	2911760834                      ; 0xad8df1c2
	.long	3378423016                      ; 0xc95ea4e8
	;; [unrolled: 1-line block ×6, first 2 shown]
	.long	258077235                       ; 0xf61f233
	.long	3071875976                      ; 0xb7191b88
	.long	240688930                       ; 0xe589f22
	.long	988895736                       ; 0x3af159f8
	.long	4263328855                      ; 0xfe1d3c57
	.long	91332032                        ; 0x5719dc0
	.long	941306162                       ; 0x381b3132
	.long	2464278288                      ; 0x92e1e710
	.long	3493666272                      ; 0xd03d1de0
	;; [unrolled: 1-line block ×4, first 2 shown]
	.long	24726067                        ; 0x1794a33
	.long	3025656863                      ; 0xb457dc1f
	.long	1343636659                      ; 0x501644b3
	.long	257301433                       ; 0xf561bb9
	.long	3097408183                      ; 0xb89eb2b7
	.long	461428710                       ; 0x1b80d7e6
	.long	2449005423                      ; 0x91f8db6f
	.long	3220070834                      ; 0xbfee61b2
	.long	3544357262                      ; 0xd342998e
	.long	907095008                       ; 0x36112be0
	.long	428073188                       ; 0x1983e0e4
	.long	1938061314                      ; 0x73847802
	.long	2094361729                      ; 0x7cd56c81
	;; [unrolled: 1-line block ×3, first 2 shown]
	.long	346999411                       ; 0x14aeca73
	.long	990247709                       ; 0x3b05fb1d
	.long	1630488660                      ; 0x612f4854
	.long	2574142591                      ; 0x996e4c7f
	.long	1466763688                      ; 0x576d09a8
	.long	1906935236                      ; 0x71a985c4
	.long	1592544037                      ; 0x5eec4b25
	.long	4168163186                      ; 0xf8711f72
	.long	2773942807                      ; 0xa5570217
	.long	3608227467                      ; 0xd7112e8b
	.long	1610069434                      ; 0x5ff7b5ba
	.long	1935303983                      ; 0x735a652f
	.long	2962954128                      ; 0xb09b1790
	.long	2490925509                      ; 0x947881c5
	.long	825197245                       ; 0x312f82bd
	.long	3614258069                      ; 0xd76d3395
	.long	174125899                       ; 0xa60f34b
	.long	4113855120                      ; 0xf5347290
	.long	2449365101                      ; 0x91fe586d
	.long	167881680                       ; 0xa01abd0
	.long	4115219971                      ; 0xf5494603
	.long	3187664453                      ; 0xbdffe645
	;; [unrolled: 1-line block ×6, first 2 shown]
	.long	388172915                       ; 0x17230c73
	.long	1125615727                      ; 0x4317886f
	.long	881693338                       ; 0x348d929a
	.long	223946687                       ; 0xd5927bf
	;; [unrolled: 1-line block ×4, first 2 shown]
	.long	4134747901                      ; 0xf6733efd
	.long	616417204                       ; 0x24bdc7b4
	.long	722598357                       ; 0x2b11f9d5
	;; [unrolled: 1-line block ×4, first 2 shown]
	.long	1295821322                      ; 0x4d3caa0a
	.long	3810209448                      ; 0xe31b2ea8
	;; [unrolled: 1-line block ×18, first 2 shown]
	.long	73007125                        ; 0x45a0015
	.long	2746034685                      ; 0xa3ad29fd
	.long	2078139227                      ; 0x7bdde35b
	;; [unrolled: 1-line block ×8, first 2 shown]
	.long	36092756                        ; 0x226bb54
	.long	3343221736                      ; 0xc74583e8
	.long	4089112489                      ; 0xf3bae7a9
	;; [unrolled: 1-line block ×6, first 2 shown]
	.long	811825474                       ; 0x30637942
	.long	4089105370                      ; 0xf3bacbda
	.long	708239097                       ; 0x2a36def9
	.long	4135459720                      ; 0xf67e1b88
	.long	2485576001                      ; 0x9426e141
	.long	468898217                       ; 0x1bf2d1a9
	.long	1722559700                      ; 0x66ac2cd4
	.long	2499754488                      ; 0x94ff39f8
	;; [unrolled: 1-line block ×4, first 2 shown]
	.long	549502184                       ; 0x20c0bce8
	.long	4040463514                      ; 0xf0d4949a
	.long	4228169080                      ; 0xfc04bd78
	.long	2521060775                      ; 0x964455a7
	.long	3177940420                      ; 0xbd6b85c4
	.long	2992525399                      ; 0xb25e5057
	.long	2107053637                      ; 0x7d971645
	.long	197348940                       ; 0xbc34e4c
	.long	4225425195                      ; 0xfbdadf2b
	.long	3596140613                      ; 0xd658c045
	;; [unrolled: 1-line block ×10, first 2 shown]
	.long	270743120                       ; 0x10233650
	.long	344033794                       ; 0x14818a02
	;; [unrolled: 1-line block ×3, first 2 shown]
	.long	2595474066                      ; 0x9ab3ca92
	.long	1654579304                      ; 0x629ee068
	.long	986127123                       ; 0x3ac71b13
	.long	1849659590                      ; 0x6e3f90c6
	.long	3153502700                      ; 0xbbf6a1ec
	.long	601607977                       ; 0x23dbcf29
	.long	2695457160                      ; 0xa0a96988
	.long	437034992                       ; 0x1a0c9ff0
	.long	3559496104                      ; 0xd42999a8
	.long	1674050253                      ; 0x63c7facd
	;; [unrolled: 1-line block ×3, first 2 shown]
	.long	676369068                       ; 0x285092ac
	.long	956939381                       ; 0x3909bc75
	.long	1583197657                      ; 0x5e5dadd9
	.long	141452045                       ; 0x86e630d
	.long	2383327493                      ; 0x8e0eb105
	.long	1222336195                      ; 0x48db5ec3
	;; [unrolled: 1-line block ×6, first 2 shown]
	.long	453206569                       ; 0x1b036229
	.long	3610364652                      ; 0xd731caec
	.long	1939413704                      ; 0x73991ac8
	.long	1145768764                      ; 0x444b0b3c
	.long	3628222572                      ; 0xd842486c
	.long	3108689607                      ; 0xb94ad6c7
	.long	708259891                       ; 0x2a373033
	.long	2911760834                      ; 0xad8df1c2
	.long	3378423016                      ; 0xc95ea4e8
	;; [unrolled: 1-line block ×6, first 2 shown]
	.long	258077235                       ; 0xf61f233
	.long	3071875976                      ; 0xb7191b88
	.long	240688930                       ; 0xe589f22
	.long	3815218922                      ; 0xe3679eea
	.long	4263328855                      ; 0xfe1d3c57
	.long	91332032                        ; 0x5719dc0
	.long	941306162                       ; 0x381b3132
	.long	2464278288                      ; 0x92e1e710
	.long	3018835600                      ; 0xb3efc690
	;; [unrolled: 1-line block ×4, first 2 shown]
	.long	24726067                        ; 0x1794a33
	.long	3025656863                      ; 0xb457dc1f
	.long	368313673                       ; 0x15f40549
	.long	257301433                       ; 0xf561bb9
	.long	3097408183                      ; 0xb89eb2b7
	.long	461428710                       ; 0x1b80d7e6
	.long	2449005423                      ; 0x91f8db6f
	.long	3690066046                      ; 0xdbf1f07e
	;; [unrolled: 1-line block ×3, first 2 shown]
	.long	907095008                       ; 0x36112be0
	.long	428073188                       ; 0x1983e0e4
	.long	1938061314                      ; 0x73847802
	.long	2274317748                      ; 0x878f55b4
	;; [unrolled: 1-line block ×3, first 2 shown]
	.long	346999411                       ; 0x14aeca73
	.long	990247709                       ; 0x3b05fb1d
	.long	1630488660                      ; 0x612f4854
	.long	1584471638                      ; 0x5e711e56
	;; [unrolled: 1-line block ×6, first 2 shown]
	.long	473837206                       ; 0x1c3e2e96
	.long	3608227467                      ; 0xd7112e8b
	.long	1610069434                      ; 0x5ff7b5ba
	;; [unrolled: 1-line block ×4, first 2 shown]
	.long	391171548                       ; 0x1750cddc
	.long	825197245                       ; 0x312f82bd
	.long	3614258069                      ; 0xd76d3395
	.long	174125899                       ; 0xa60f34b
	.long	4113855120                      ; 0xf5347290
	.long	2095676907                      ; 0x7ce97deb
	.long	167881680                       ; 0xa01abd0
	.long	4115219971                      ; 0xf5494603
	.long	3187664453                      ; 0xbdffe645
	;; [unrolled: 1-line block ×6, first 2 shown]
	.long	388172915                       ; 0x17230c73
	.long	1125615727                      ; 0x4317886f
	.long	3158677395                      ; 0xbc459793
	.long	223946687                       ; 0xd5927bf
	.long	859388069                       ; 0x333938a5
	;; [unrolled: 1-line block ×3, first 2 shown]
	.long	4134747901                      ; 0xf6733efd
	.long	4017781965                      ; 0xef7a7ccd
	.long	722598357                       ; 0x2b11f9d5
	.long	783302897                       ; 0x2eb040f1
	;; [unrolled: 1-line block ×3, first 2 shown]
	.long	1295821322                      ; 0x4d3caa0a
	.long	3908594844                      ; 0xe8f86c9c
	;; [unrolled: 1-line block ×11, first 2 shown]
	.long	638075690                       ; 0x2608432a
	.long	1427210741                      ; 0x551181f5
	.long	2251144849                      ; 0x862dbe91
	;; [unrolled: 1-line block ×6, first 2 shown]
	.long	73007125                        ; 0x45a0015
	.long	2746034685                      ; 0xa3ad29fd
	.long	2078139227                      ; 0x7bdde35b
	.long	1974062189                      ; 0x75a9cc6d
	.long	3065859797                      ; 0xb6bd4ed5
	.long	2729117517                      ; 0xa2ab074d
	.long	3004993826                      ; 0xb31c9122
	.long	2045843139                      ; 0x79f116c3
	.long	772058252                       ; 0x2e04ac8c
	.long	36092756                        ; 0x226bb54
	.long	3343221736                      ; 0xc74583e8
	.long	4089112489                      ; 0xf3bae7a9
	;; [unrolled: 1-line block ×6, first 2 shown]
	.long	811825474                       ; 0x30637942
	.long	4089105370                      ; 0xf3bacbda
	.long	1822881146                      ; 0x6ca6f57a
	.long	4135459720                      ; 0xf67e1b88
	.long	2485576001                      ; 0x9426e141
	.long	468898217                       ; 0x1bf2d1a9
	.long	1722559700                      ; 0x66ac2cd4
	.long	3429640856                      ; 0xcc6c2a98
	.long	1392696606                      ; 0x5302dd1e
	.long	2271486862                      ; 0x8764238e
	;; [unrolled: 5-line block ×3, first 2 shown]
	.long	2992525399                      ; 0xb25e5057
	.long	2107053637                      ; 0x7d971645
	;; [unrolled: 1-line block ×13, first 2 shown]
	.long	270743120                       ; 0x10233650
	.long	344033794                       ; 0x14818a02
	;; [unrolled: 1-line block ×3, first 2 shown]
	.long	2595474066                      ; 0x9ab3ca92
	.long	3143800435                      ; 0xbb629673
	.long	986127123                       ; 0x3ac71b13
	.long	1849659590                      ; 0x6e3f90c6
	.long	3153502700                      ; 0xbbf6a1ec
	.long	601607977                       ; 0x23dbcf29
	.long	2334441739                      ; 0x8b24c10b
	.long	437034992                       ; 0x1a0c9ff0
	.long	3559496104                      ; 0xd42999a8
	.long	1674050253                      ; 0x63c7facd
	;; [unrolled: 1-line block ×3, first 2 shown]
	.long	455274178                       ; 0x1b22eec2
	.long	956939381                       ; 0x3909bc75
	.long	1583197657                      ; 0x5e5dadd9
	.long	141452045                       ; 0x86e630d
	.long	2383327493                      ; 0x8e0eb105
	.long	1520979444                      ; 0x5aa84df4
	;; [unrolled: 1-line block ×12, first 2 shown]
	.long	708259891                       ; 0x2a373033
	.long	2911760834                      ; 0xad8df1c2
	.long	3378423016                      ; 0xc95ea4e8
	;; [unrolled: 1-line block ×6, first 2 shown]
	.long	258077235                       ; 0xf61f233
	.long	3071875976                      ; 0xb7191b88
	.long	513762712                       ; 0x1e9f6598
	.long	3815218922                      ; 0xe3679eea
	.long	4263328855                      ; 0xfe1d3c57
	.long	91332032                        ; 0x5719dc0
	.long	941306162                       ; 0x381b3132
	.long	3000922309                      ; 0xb2de70c5
	.long	3018835600                      ; 0xb3efc690
	;; [unrolled: 1-line block ×4, first 2 shown]
	.long	24726067                        ; 0x1794a33
	.long	3626352172                      ; 0xd825be2c
	.long	368313673                       ; 0x15f40549
	.long	257301433                       ; 0xf561bb9
	.long	3097408183                      ; 0xb89eb2b7
	.long	461428710                       ; 0x1b80d7e6
	.long	2370224855                      ; 0x8d46c2d7
	.long	3690066046                      ; 0xdbf1f07e
	;; [unrolled: 1-line block ×3, first 2 shown]
	.long	907095008                       ; 0x36112be0
	.long	428073188                       ; 0x1983e0e4
	.long	2279237523                      ; 0x87da6793
	.long	2274317748                      ; 0x878f55b4
	;; [unrolled: 1-line block ×3, first 2 shown]
	.long	346999411                       ; 0x14aeca73
	.long	990247709                       ; 0x3b05fb1d
	;; [unrolled: 1-line block ×3, first 2 shown]
	.long	1584471638                      ; 0x5e711e56
	.long	1466763688                      ; 0x576d09a8
	;; [unrolled: 1-line block ×5, first 2 shown]
	.long	473837206                       ; 0x1c3e2e96
	.long	3608227467                      ; 0xd7112e8b
	.long	1610069434                      ; 0x5ff7b5ba
	;; [unrolled: 1-line block ×4, first 2 shown]
	.long	391171548                       ; 0x1750cddc
	.long	825197245                       ; 0x312f82bd
	.long	3614258069                      ; 0xd76d3395
	.long	174125899                       ; 0xa60f34b
	.long	2940674123                      ; 0xaf47204b
	.long	2095676907                      ; 0x7ce97deb
	.long	167881680                       ; 0xa01abd0
	.long	4115219971                      ; 0xf5494603
	;; [unrolled: 3-line block ×3, first 2 shown]
	.long	1971633162                      ; 0x7584bc0a
	.long	2144945539                      ; 0x7fd94583
	.long	388172915                       ; 0x17230c73
	.long	4041481385                      ; 0xf0e41ca9
	.long	3158677395                      ; 0xbc459793
	.long	223946687                       ; 0xd5927bf
	.long	859388069                       ; 0x333938a5
	;; [unrolled: 1-line block ×3, first 2 shown]
	.long	3094936989                      ; 0xb878fd9d
	.long	4017781965                      ; 0xef7a7ccd
	.long	722598357                       ; 0x2b11f9d5
	.long	783302897                       ; 0x2eb040f1
	;; [unrolled: 1-line block ×3, first 2 shown]
	.long	4078350595                      ; 0xf316b103
	.long	2002159085                      ; 0x775685ed
	;; [unrolled: 1-line block ×10, first 2 shown]
	.long	392203913                       ; 0x17608e89
	.long	970480700                       ; 0x39d85c3c
	.long	1611278056                      ; 0x600a26e8
	.long	1212903807                      ; 0x484b717f
	.long	85815670                        ; 0x51d7176
	.long	2398261756                      ; 0x8ef291fc
	.long	1052760308                      ; 0x3ebfd8f4
	.long	175807153                       ; 0xa7a9ab1
	.long	2617028873                      ; 0x9bfcb109
	.long	1862087601                      ; 0x6efd33b1
	;; [unrolled: 1-line block ×4, first 2 shown]
	.long	141863380                       ; 0x874a9d4
	.long	2090619424                      ; 0x7c9c5220
	.long	3994019338                      ; 0xee0fe60a
	;; [unrolled: 1-line block ×7, first 2 shown]
	.long	145789343                       ; 0x8b0919f
	.long	214170401                       ; 0xcc3fb21
	.long	2926373126                      ; 0xae6ce906
	.long	3858640613                      ; 0xe5fe2ee5
	;; [unrolled: 1-line block ×3, first 2 shown]
	.long	459887603                       ; 0x1b6953f3
	.long	2117474937                      ; 0x7e361a79
	.long	2514234285                      ; 0x95dc2bad
	;; [unrolled: 1-line block ×7, first 2 shown]
	.long	563029256                       ; 0x218f2508
	.long	28681425                        ; 0x1b5a4d1
	.long	446949770                       ; 0x1aa3e98a
	.long	3498545218                      ; 0xd0879042
	.long	435874305                       ; 0x19faea01
	.long	3448653884                      ; 0xcd8e483c
	;; [unrolled: 2-line block ×3, first 2 shown]
	.long	4211345429                      ; 0xfb040815
	.long	971855563                       ; 0x39ed56cb
	.long	1475394960                      ; 0x57f0bd90
	.long	3401692834                      ; 0xcac1b6a2
	.long	167361776                       ; 0x9f9bcf0
	.long	496249436                       ; 0x1d942a5c
	.long	1465278889                      ; 0x575661a9
	.long	780336162                       ; 0x2e82fc22
	.long	2108770597                      ; 0x7db14925
	.long	1806981510                      ; 0x6bb45986
	;; [unrolled: 1-line block ×4, first 2 shown]
	.long	16399665                        ; 0xfa3d31
	.long	2747394159                      ; 0xa3c1e86f
	.long	2098019492                      ; 0x7d0d3ca4
	;; [unrolled: 1-line block ×7, first 2 shown]
	.long	959676917                       ; 0x393381f5
	.long	3091540766                      ; 0xb8452b1e
	.long	1626192266                      ; 0x60edb98a
	.long	780987350                       ; 0x2e8cebd6
	.long	1102963422                      ; 0x41bde2de
	.long	2507002232                      ; 0x956dd178
	.long	691766944                       ; 0x293b86a0
	.long	193328868                       ; 0xb85f6e4
	;; [unrolled: 1-line block ×3, first 2 shown]
	.long	2384820612                      ; 0x8e257984
	.long	3149668778                      ; 0xbbbc21aa
	;; [unrolled: 1-line block ×4, first 2 shown]
	.long	893819979                       ; 0x35469c4b
	.long	2572584243                      ; 0x99568533
	.long	216077070                       ; 0xce1130e
	.long	1267249886                      ; 0x4b88b2de
	.long	2572508880                      ; 0x99555ed0
	;; [unrolled: 1-line block ×5, first 2 shown]
	.long	209783612                       ; 0xc810b3c
	.long	765896849                       ; 0x2da6a891
	.long	3617020328                      ; 0xd79759a8
	.long	3488800100                      ; 0xcff2dd64
	.long	2237655981                      ; 0x855febad
	.long	2095308189                      ; 0x7ce3dd9d
	.long	963275857                       ; 0x396a6c51
	.long	3563488318                      ; 0xd466843e
	.long	1865487834                      ; 0x6f3115da
	.long	480006810                       ; 0x1c9c529a
	.long	18562439                        ; 0x11b3d87
	.long	1025913188                      ; 0x3d263164
	.long	3368592397                      ; 0xc8c8a40d
	.long	374648713                       ; 0x1654af89
	.long	2421713724                      ; 0x90586b3c
	.long	2705651398                      ; 0xa144f6c6
	;; [unrolled: 1-line block ×7, first 2 shown]
	.long	862934481                       ; 0x336f55d1
	.long	3624479194                      ; 0xd80929da
	.long	3574284465                      ; 0xd50b40b1
	;; [unrolled: 1-line block ×10, first 2 shown]
	.long	697729046                       ; 0x29968016
	.long	886223984                       ; 0x34d2b470
	.long	2196986730                      ; 0x82f35b6a
	.long	1157617208                      ; 0x44ffd638
	;; [unrolled: 1-line block ×3, first 2 shown]
	.long	398452318                       ; 0x17bfe65e
	.long	3523714364                      ; 0xd2079d3c
	.long	613570866                       ; 0x24925932
	.long	2962430983                      ; 0xb0931c07
	.long	1408814780                      ; 0x53f8cebc
	.long	892117129                       ; 0x352ca089
	.long	4173164219                      ; 0xf8bd6ebb
	.long	3894076479                      ; 0xe81ae43f
	.long	2721348430                      ; 0xa2347b4e
	.long	555734931                       ; 0x211fd793
	.long	1869034419                      ; 0x6f6733b3
	.long	336114876                       ; 0x1408b4bc
	.long	3142554871                      ; 0xbb4f94f7
	.long	3349604636                      ; 0xc7a6e91c
	.long	3450290892                      ; 0xcda742cc
	.long	955122895                       ; 0x38ee04cf
	.long	2202902910                      ; 0x834da17e
	.long	2558366468                      ; 0x987d9304
	;; [unrolled: 4-line block ×3, first 2 shown]
	.long	2285857699                      ; 0x883f6ba3
	.long	880475184                       ; 0x347afc30
	.long	958651279                       ; 0x3923db8f
	;; [unrolled: 1-line block ×3, first 2 shown]
	.long	3842420528                      ; 0xe506af30
	.long	1568559789                      ; 0x5d7e52ad
	.long	2986618464                      ; 0xb2042e60
	.long	2568345525                      ; 0x9915d7b5
	.long	3081082692                      ; 0xb7a59744
	.long	575494427                       ; 0x224d591b
	.long	2773243709                      ; 0xa54c573d
	.long	4009191487                      ; 0xeef7683f
	;; [unrolled: 1-line block ×10, first 2 shown]
	.long	889352935                       ; 0x350272e7
	.long	628666312                       ; 0x2578afc8
	;; [unrolled: 1-line block ×3, first 2 shown]
	.long	2949092155                      ; 0xafc7933b
	.long	1116804589                      ; 0x429115ed
	.long	998930334                       ; 0x3b8a779e
	.long	4144153491                      ; 0xf702c393
	.long	4191022348                      ; 0xf9cded0c
	.long	9022505                         ; 0x89ac29
	.long	4033326555                      ; 0xf067addb
	.long	2329569601                      ; 0x8ada6941
	.long	824756145                       ; 0x3128c7b1
	.long	3501916851                      ; 0xd0bb02b3
	.long	1481410328                      ; 0x584c8718
	;; [unrolled: 1-line block ×9, first 2 shown]
	.long	280282398                       ; 0x10b4c51e
	.long	3262135457                      ; 0xc2703ca1
	.long	4055383786                      ; 0xf1b83eea
	.long	28522973                        ; 0x1b339dd
	.long	1100901182                      ; 0x419e6b3e
	.long	4048609665                      ; 0xf150e181
	.long	994490185                       ; 0x3b46b749
	.long	2888527367                      ; 0xac2b6e07
	.long	3591919750                      ; 0xd6185886
	.long	65093467                        ; 0x3e13f5b
	.long	399797207                       ; 0x17d46bd7
	.long	3377740861                      ; 0xc9543c3d
	.long	3103183487                      ; 0xb8f6d27f
	;; [unrolled: 1-line block ×3, first 2 shown]
	.long	866353724                       ; 0x33a3823c
	.long	3847992271                      ; 0xe55bb3cf
	.long	2821933890                      ; 0xa8334b42
	;; [unrolled: 1-line block ×5, first 2 shown]
	.long	636444475                       ; 0x25ef5f3b
	.long	2465430290                      ; 0x92f37b12
	.long	2440306765                      ; 0x9174204d
	;; [unrolled: 1-line block ×4, first 2 shown]
	.long	43843628                        ; 0x29d002c
	.long	518479547                       ; 0x1ee75ebb
	.long	3708355608                      ; 0xdd090418
	.long	2313400729                      ; 0x89e3b199
	;; [unrolled: 1-line block ×5, first 2 shown]
	.long	524168411                       ; 0x1f3e2cdb
	.long	2580824843                      ; 0x99d4430b
	.long	2687886610                      ; 0xa035e512
	.long	785942949                       ; 0x2ed889a5
	.long	2624395631                      ; 0x9c6d196f
	.long	3713348903                      ; 0xdd553527
	;; [unrolled: 1-line block ×7, first 2 shown]
	.long	382688861                       ; 0x16cf5e5d
	.long	2843792951                      ; 0xa980d637
	.long	39122499                        ; 0x254f643
	.long	2765954033                      ; 0xa4dd1bf1
	.long	3033237617                      ; 0xb4cb8871
	.long	784228054                       ; 0x2ebe5ed6
	.long	1680611136                      ; 0x642c1740
	.long	2306036746                      ; 0x8973540a
	.long	892707919                       ; 0x3535a44f
	.long	3825738103                      ; 0xe4082177
	.long	1289362844                      ; 0x4cda1d9c
	;; [unrolled: 1-line block ×3, first 2 shown]
	.long	484526950                       ; 0x1ce14b66
	.long	178560970                       ; 0xaa49fca
	.long	1863413515                      ; 0x6f116f0b
	.long	71290794                        ; 0x43fcfaa
	.long	1716785670                      ; 0x66541206
	.long	3881310302                      ; 0xe758185e
	;; [unrolled: 1-line block ×8, first 2 shown]
	.long	738699928                       ; 0x2c07aa98
	.long	2244576791                      ; 0x85c98617
	.long	1833964269                      ; 0x6d5012ed
	;; [unrolled: 1-line block ×6, first 2 shown]
	.long	674208214                       ; 0x282f99d6
	.long	587191877                       ; 0x22ffd645
	;; [unrolled: 1-line block ×3, first 2 shown]
	.long	1639419136                      ; 0x61b78d00
	.long	2742744205                      ; 0xa37af48d
	;; [unrolled: 1-line block ×4, first 2 shown]
	.long	861410771                       ; 0x335815d3
	.long	3473658359                      ; 0xcf0bd1f7
	.long	2879790483                      ; 0xaba61d93
	;; [unrolled: 1-line block ×6, first 2 shown]
	.long	480532790                       ; 0x1ca45936
	.long	2926891626                      ; 0xae74d26a
	.long	1366888524                      ; 0x5179104c
	;; [unrolled: 1-line block ×3, first 2 shown]
	.long	620045088                       ; 0x24f52320
	.long	2279182738                      ; 0x87d99192
	.long	2479688463                      ; 0x93cd0b0f
	.long	427385986                       ; 0x19796482
	.long	271096497                       ; 0x10289ab1
	.long	1999040724                      ; 0x7726f0d4
	.long	1980388138                      ; 0x760a532a
	;; [unrolled: 1-line block ×13, first 2 shown]
	.long	665795763                       ; 0x27af3cb3
	.long	3869868300                      ; 0xe6a9810c
	.long	4033135159                      ; 0xf064c237
	.long	2589983679                      ; 0x9a6003bf
	.long	682593183                       ; 0x28af8b9f
	.long	1254600537                      ; 0x4ac7af59
	.long	1701095863                      ; 0x6564a9b7
	.long	3738080583                      ; 0xdece9547
	;; [unrolled: 4-line block ×3, first 2 shown]
	.long	466053171                       ; 0x1bc76833
	.long	2320346625                      ; 0x8a4dae01
	.long	485850108                       ; 0x1cf57bfc
	.long	1279183025                      ; 0x4c3ec8b1
	;; [unrolled: 2-line block ×3, first 2 shown]
	.long	228799661                       ; 0xda334ad
	.long	575494427                       ; 0x224d591b
	.long	2773243709                      ; 0xa54c573d
	.long	4009191487                      ; 0xeef7683f
	;; [unrolled: 1-line block ×8, first 2 shown]
	.long	303018213                       ; 0x120fb0e5
	.long	2939203697                      ; 0xaf30b071
	.long	889352935                       ; 0x350272e7
	.long	628666312                       ; 0x2578afc8
	;; [unrolled: 1-line block ×4, first 2 shown]
	.long	1116804589                      ; 0x429115ed
	.long	998930334                       ; 0x3b8a779e
	.long	4144153491                      ; 0xf702c393
	.long	4191022348                      ; 0xf9cded0c
	;; [unrolled: 1-line block ×5, first 2 shown]
	.long	824756145                       ; 0x3128c7b1
	.long	3501916851                      ; 0xd0bb02b3
	.long	3512382126                      ; 0xd15ab2ae
	;; [unrolled: 1-line block ×9, first 2 shown]
	.long	280282398                       ; 0x10b4c51e
	.long	3262135457                      ; 0xc2703ca1
	.long	416160861                       ; 0x18ce1c5d
	.long	28522973                        ; 0x1b339dd
	.long	1100901182                      ; 0x419e6b3e
	.long	4048609665                      ; 0xf150e181
	.long	994490185                       ; 0x3b46b749
	.long	2206150488                      ; 0x837f2f58
	.long	3591919750                      ; 0xd6185886
	.long	65093467                        ; 0x3e13f5b
	.long	399797207                       ; 0x17d46bd7
	.long	3377740861                      ; 0xc9543c3d
	.long	3954301001                      ; 0xebb1d849
	;; [unrolled: 1-line block ×3, first 2 shown]
	.long	866353724                       ; 0x33a3823c
	.long	3847992271                      ; 0xe55bb3cf
	.long	2821933890                      ; 0xa8334b42
	.long	482325742                       ; 0x1cbfb4ee
	.long	1702442928                      ; 0x657937b0
	.long	1271285504                      ; 0x4bc64700
	.long	636444475                       ; 0x25ef5f3b
	.long	2465430290                      ; 0x92f37b12
	.long	476965483                       ; 0x1c6dea6b
	.long	2651443172                      ; 0x9e09cfe4
	.long	2895101023                      ; 0xac8fbc5f
	.long	43843628                        ; 0x29d002c
	.long	518479547                       ; 0x1ee75ebb
	.long	2354104222                      ; 0x8c50c79e
	.long	2313400729                      ; 0x89e3b199
	;; [unrolled: 1-line block ×8, first 2 shown]
	.long	785942949                       ; 0x2ed889a5
	.long	2624395631                      ; 0x9c6d196f
	.long	3219885224                      ; 0xbfeb8ca8
	;; [unrolled: 1-line block ×7, first 2 shown]
	.long	382688861                       ; 0x16cf5e5d
	.long	2843792951                      ; 0xa980d637
	.long	39122499                        ; 0x254f643
	.long	2765954033                      ; 0xa4dd1bf1
	.long	2870716981                      ; 0xab1baa35
	.long	784228054                       ; 0x2ebe5ed6
	.long	1680611136                      ; 0x642c1740
	.long	2306036746                      ; 0x8973540a
	.long	892707919                       ; 0x3535a44f
	.long	2648492467                      ; 0x9ddcc9b3
	.long	1289362844                      ; 0x4cda1d9c
	;; [unrolled: 1-line block ×3, first 2 shown]
	.long	484526950                       ; 0x1ce14b66
	.long	178560970                       ; 0xaa49fca
	.long	3047404165                      ; 0xb5a3b285
	.long	71290794                        ; 0x43fcfaa
	.long	1716785670                      ; 0x66541206
	.long	3881310302                      ; 0xe758185e
	;; [unrolled: 1-line block ×13, first 2 shown]
	.long	655108124                       ; 0x270c281c
	.long	2334116476                      ; 0x8b1fca7c
	.long	674208214                       ; 0x282f99d6
	.long	587191877                       ; 0x22ffd645
	;; [unrolled: 1-line block ×3, first 2 shown]
	.long	1403491312                      ; 0x53a793f0
	.long	2742744205                      ; 0xa37af48d
	;; [unrolled: 1-line block ×4, first 2 shown]
	.long	861410771                       ; 0x335815d3
	.long	2748819627                      ; 0xa3d7a8ab
	.long	2879790483                      ; 0xaba61d93
	;; [unrolled: 1-line block ×6, first 2 shown]
	.long	480532790                       ; 0x1ca45936
	.long	2926891626                      ; 0xae74d26a
	.long	1366888524                      ; 0x5179104c
	;; [unrolled: 1-line block ×3, first 2 shown]
	.long	691077353                       ; 0x293100e9
	.long	2279182738                      ; 0x87d99192
	.long	2479688463                      ; 0x93cd0b0f
	.long	427385986                       ; 0x19796482
	.long	271096497                       ; 0x10289ab1
	;; [unrolled: 1-line block ×3, first 2 shown]
	.long	1980388138                      ; 0x760a532a
	.long	3104550456                      ; 0xb90bae38
	;; [unrolled: 1-line block ×4, first 2 shown]
	.long	717953620                       ; 0x2acb1a54
	.long	4020221165                      ; 0xef9fb4ed
	.long	2567325850                      ; 0x9906489a
	;; [unrolled: 1-line block ×4, first 2 shown]
	.long	588189150                       ; 0x230f0dde
	.long	2395930109                      ; 0x8ecefdfd
	.long	1867061176                      ; 0x6f4917b8
	.long	665795763                       ; 0x27af3cb3
	.long	3869868300                      ; 0xe6a9810c
	.long	2245339306                      ; 0x85d528aa
	.long	2589983679                      ; 0x9a6003bf
	.long	682593183                       ; 0x28af8b9f
	.long	1254600537                      ; 0x4ac7af59
	;; [unrolled: 4-line block ×3, first 2 shown]
	.long	1866531599                      ; 0x6f41030f
	.long	1317004965                      ; 0x4e7fe6a5
	;; [unrolled: 1-line block ×4, first 2 shown]
	.long	485850108                       ; 0x1cf57bfc
	.long	1279183025                      ; 0x4c3ec8b1
	.long	423884362                       ; 0x1943f64a
	.long	1310342080                      ; 0x4e1a3bc0
	.long	228799661                       ; 0xda334ad
	.long	575494427                       ; 0x224d591b
	.long	2773243709                      ; 0xa54c573d
	.long	4009191487                      ; 0xeef7683f
	;; [unrolled: 1-line block ×7, first 2 shown]
	.long	558594993                       ; 0x214b7bb1
	.long	303018213                       ; 0x120fb0e5
	.long	2939203697                      ; 0xaf30b071
	.long	889352935                       ; 0x350272e7
	.long	628666312                       ; 0x2578afc8
	.long	3995857198                      ; 0xee2bf12e
	.long	691563049                       ; 0x29386a29
	.long	1116804589                      ; 0x429115ed
	;; [unrolled: 2-line block ×3, first 2 shown]
	.long	2375099047                      ; 0x8d9122a7
	.long	2882458100                      ; 0xabced1f4
	;; [unrolled: 1-line block ×4, first 2 shown]
	.long	824756145                       ; 0x3128c7b1
	.long	3031828205                      ; 0xb4b606ed
	.long	3512382126                      ; 0xd15ab2ae
	.long	1970954319                      ; 0x757a604f
	.long	4022176157                      ; 0xefbd899d
	.long	2356841052                      ; 0x8c7a8a5c
	.long	1599294097                      ; 0x5f534a91
	.long	3277915742                      ; 0xc361065e
	.long	3205430658                      ; 0xbf0efd82
	.long	1460938436                      ; 0x571426c4
	.long	280282398                       ; 0x10b4c51e
	.long	2438973535                      ; 0x915fc85f
	.long	416160861                       ; 0x18ce1c5d
	.long	28522973                        ; 0x1b339dd
	.long	1100901182                      ; 0x419e6b3e
	.long	4048609665                      ; 0xf150e181
	;; [unrolled: 1-line block ×5, first 2 shown]
	.long	65093467                        ; 0x3e13f5b
	.long	399797207                       ; 0x17d46bd7
	.long	183644195                       ; 0xaf23023
	.long	3954301001                      ; 0xebb1d849
	.long	3696509979                      ; 0xdc54441b
	.long	866353724                       ; 0x33a3823c
	.long	3847992271                      ; 0xe55bb3cf
	.long	1244421011                      ; 0x4a2c5b93
	;; [unrolled: 3-line block ×3, first 2 shown]
	.long	636444475                       ; 0x25ef5f3b
	.long	3659422961                      ; 0xda1e5cf1
	.long	476965483                       ; 0x1c6dea6b
	.long	2651443172                      ; 0x9e09cfe4
	.long	2895101023                      ; 0xac8fbc5f
	.long	43843628                        ; 0x29d002c
	.long	2230230933                      ; 0x84ee9f95
	.long	2354104222                      ; 0x8c50c79e
	;; [unrolled: 1-line block ×9, first 2 shown]
	.long	785942949                       ; 0x2ed889a5
	.long	126345381                       ; 0x787e0a5
	.long	3219885224                      ; 0xbfeb8ca8
	.long	4104123478                      ; 0xf49ff456
	.long	2234056629                      ; 0x8528ffb5
	.long	2683158959                      ; 0x9fedc1af
	.long	1734650983                      ; 0x6764ac67
	.long	4143809855                      ; 0xf6fd853f
	.long	382688861                       ; 0x16cf5e5d
	.long	2843792951                      ; 0xa980d637
	.long	39122499                        ; 0x254f643
	.long	3527484969                      ; 0xd2412629
	.long	2870716981                      ; 0xab1baa35
	.long	784228054                       ; 0x2ebe5ed6
	.long	1680611136                      ; 0x642c1740
	.long	2306036746                      ; 0x8973540a
	;; [unrolled: 1-line block ×6, first 2 shown]
	.long	484526950                       ; 0x1ce14b66
	.long	3730796296                      ; 0xde5f6f08
	.long	3047404165                      ; 0xb5a3b285
	.long	71290794                        ; 0x43fcfaa
	.long	1716785670                      ; 0x66541206
	.long	3881310302                      ; 0xe758185e
	;; [unrolled: 1-line block ×13, first 2 shown]
	.long	655108124                       ; 0x270c281c
	.long	2334116476                      ; 0x8b1fca7c
	.long	674208214                       ; 0x282f99d6
	.long	587191877                       ; 0x22ffd645
	.long	1531247446                      ; 0x5b44fb56
	.long	1403491312                      ; 0x53a793f0
	;; [unrolled: 1-line block ×12, first 2 shown]
	.long	480532790                       ; 0x1ca45936
	.long	2926891626                      ; 0xae74d26a
	.long	1366888524                      ; 0x5179104c
	;; [unrolled: 1-line block ×3, first 2 shown]
	.long	691077353                       ; 0x293100e9
	.long	2279182738                      ; 0x87d99192
	.long	2479688463                      ; 0x93cd0b0f
	.long	427385986                       ; 0x19796482
	.long	3906690631                      ; 0xe8db5e47
	.long	357444234                       ; 0x154e2a8a
	.long	1980388138                      ; 0x760a532a
	.long	3104550456                      ; 0xb90bae38
	.long	2496325717                      ; 0x94cae855
	.long	2272350403                      ; 0x877150c3
	.long	717953620                       ; 0x2acb1a54
	.long	4020221165                      ; 0xef9fb4ed
	.long	2567325850                      ; 0x9906489a
	;; [unrolled: 1-line block ×4, first 2 shown]
	.long	588189150                       ; 0x230f0dde
	.long	2395930109                      ; 0x8ecefdfd
	.long	1867061176                      ; 0x6f4917b8
	.long	665795763                       ; 0x27af3cb3
	.long	1735147895                      ; 0x676c4177
	.long	2245339306                      ; 0x85d528aa
	.long	2589983679                      ; 0x9a6003bf
	.long	682593183                       ; 0x28af8b9f
	.long	1254600537                      ; 0x4ac7af59
	.long	1518037357                      ; 0x5a7b696d
	.long	3193417815                      ; 0xbe57b057
	.long	369734429                       ; 0x1609b31d
	.long	2231641462                      ; 0x85042576
	.long	1866531599                      ; 0x6f41030f
	.long	1751783137                      ; 0x686a16e1
	;; [unrolled: 1-line block ×4, first 2 shown]
	.long	485850108                       ; 0x1cf57bfc
	.long	1279183025                      ; 0x4c3ec8b1
	.long	149835864                       ; 0x8ee5058
	.long	1310342080                      ; 0x4e1a3bc0
	.long	228799661                       ; 0xda334ad
	.long	575494427                       ; 0x224d591b
	.long	2773243709                      ; 0xa54c573d
	.long	1505829825                      ; 0x59c123c1
	;; [unrolled: 1-line block ×6, first 2 shown]
	.long	856233019                       ; 0x3309143b
	.long	558594993                       ; 0x214b7bb1
	.long	303018213                       ; 0x120fb0e5
	.long	2939203697                      ; 0xaf30b071
	.long	889352935                       ; 0x350272e7
	.long	625515593                       ; 0x25489c49
	.long	3995857198                      ; 0xee2bf12e
	.long	691563049                       ; 0x29386a29
	.long	1116804589                      ; 0x429115ed
	;; [unrolled: 2-line block ×3, first 2 shown]
	.long	2375099047                      ; 0x8d9122a7
	.long	2882458100                      ; 0xabced1f4
	;; [unrolled: 1-line block ×16, first 2 shown]
	.long	416160861                       ; 0x18ce1c5d
	.long	28522973                        ; 0x1b339dd
	.long	1100901182                      ; 0x419e6b3e
	.long	3534874298                      ; 0xd2b1e6ba
	;; [unrolled: 1-line block ×5, first 2 shown]
	.long	65093467                        ; 0x3e13f5b
	.long	2231373121                      ; 0x85000d41
	.long	183644195                       ; 0xaf23023
	.long	3954301001                      ; 0xebb1d849
	.long	3696509979                      ; 0xdc54441b
	.long	866353724                       ; 0x33a3823c
	.long	1479968372                      ; 0x58368674
	;; [unrolled: 3-line block ×3, first 2 shown]
	.long	1271285504                      ; 0x4bc64700
	.long	3834022401                      ; 0xe4868a01
	;; [unrolled: 1-line block ×3, first 2 shown]
	.long	476965483                       ; 0x1c6dea6b
	.long	2651443172                      ; 0x9e09cfe4
	.long	2895101023                      ; 0xac8fbc5f
	;; [unrolled: 1-line block ×12, first 2 shown]
	.long	895602439                       ; 0x3561cf07
	.long	126345381                       ; 0x787e0a5
	.long	3219885224                      ; 0xbfeb8ca8
	.long	4104123478                      ; 0xf49ff456
	.long	2234056629                      ; 0x8528ffb5
	.long	3633565082                      ; 0xd893cd9a
	.long	1734650983                      ; 0x6764ac67
	.long	4143809855                      ; 0xf6fd853f
	.long	382688861                       ; 0x16cf5e5d
	.long	2843792951                      ; 0xa980d637
	.long	3076342354                      ; 0xb75d4252
	.long	3527484969                      ; 0xd2412629
	.long	2870716981                      ; 0xab1baa35
	.long	784228054                       ; 0x2ebe5ed6
	.long	1680611136                      ; 0x642c1740
	.long	3667923304                      ; 0xdaa01168
	.long	1606477743                      ; 0x5fc0e7af
	.long	2648492467                      ; 0x9ddcc9b3
	.long	1289362844                      ; 0x4cda1d9c
	.long	3462989616                      ; 0xce690730
	.long	1338592032                      ; 0x4fc94b20
	.long	3730796296                      ; 0xde5f6f08
	.long	3047404165                      ; 0xb5a3b285
	.long	71290794                        ; 0x43fcfaa
	.long	1716785670                      ; 0x66541206
	.long	995728648                       ; 0x3b599d08
	.long	4233965062                      ; 0xfc5d2e06
	.long	2439325884                      ; 0x916528bc
	;; [unrolled: 1-line block ×11, first 2 shown]
	.long	655108124                       ; 0x270c281c
	.long	2334116476                      ; 0x8b1fca7c
	.long	674208214                       ; 0x282f99d6
	.long	1154789946                      ; 0x44d4b23a
	.long	1531247446                      ; 0x5b44fb56
	;; [unrolled: 1-line block ×10, first 2 shown]
	.long	177853954                       ; 0xa99d602
	.long	1430402656                      ; 0x55423660
	.long	2646753562                      ; 0x9dc2411a
	.long	480532790                       ; 0x1ca45936
	.long	2926891626                      ; 0xae74d26a
	.long	3179057526                      ; 0xbd7c9176
	.long	1848714433                      ; 0x6e3124c1
	.long	691077353                       ; 0x293100e9
	.long	2279182738                      ; 0x87d99192
	.long	2479688463                      ; 0x93cd0b0f
	.long	1988854710                      ; 0x768b83b6
	.long	3906690631                      ; 0xe8db5e47
	.long	357444234                       ; 0x154e2a8a
	.long	1980388138                      ; 0x760a532a
	;; [unrolled: 5-line block ×4, first 2 shown]
	.long	1867061176                      ; 0x6f4917b8
	.long	2248975336                      ; 0x860ca3e8
	;; [unrolled: 1-line block ×5, first 2 shown]
	.long	682593183                       ; 0x28af8b9f
	.long	3087155398                      ; 0xb80240c6
	.long	1518037357                      ; 0x5a7b696d
	;; [unrolled: 1-line block ×3, first 2 shown]
	.long	369734429                       ; 0x1609b31d
	.long	2231641462                      ; 0x85042576
	.long	1858424931                      ; 0x6ec55063
	;; [unrolled: 1-line block ×5, first 2 shown]
	.long	485850108                       ; 0x1cf57bfc
	.long	2471611230                      ; 0x9351cb5e
	.long	107369761                       ; 0x6665521
	.long	2623559579                      ; 0x9c60579b
	.long	4256589070                      ; 0xfdb6650e
	.long	2365810185                      ; 0x8d036609
	.long	907910243                       ; 0x361d9c63
	.long	3901832478                      ; 0xe8913d1e
	.long	2068079364                      ; 0x7b446304
	;; [unrolled: 4-line block ×3, first 2 shown]
	.long	2618898012                      ; 0x9c19365c
	.long	600446000                       ; 0x23ca1430
	.long	788321632                       ; 0x2efcd560
	.long	4119629235                      ; 0xf58c8db3
	.long	2648781584                      ; 0x9de13310
	;; [unrolled: 1-line block ×3, first 2 shown]
	.long	171372782                       ; 0xa36f0ee
	.long	1789511950                      ; 0x6aa9c90e
	.long	2648296999                      ; 0x9dd9ce27
	;; [unrolled: 1-line block ×7, first 2 shown]
	.long	784021820                       ; 0x2ebb393c
	.long	1379044539                      ; 0x52328cbb
	.long	591935962                       ; 0x234839da
	.long	1638390839                      ; 0x61a7dc37
	.long	10832053                        ; 0xa548b5
	.long	3946625290                      ; 0xeb3cb90a
	.long	2916913801                      ; 0xaddc9289
	;; [unrolled: 1-line block ×5, first 2 shown]
	.long	19889234                        ; 0x12f7c52
	.long	1374364843                      ; 0x51eb24ab
	.long	571354125                       ; 0x220e2c0d
	.long	3357938719                      ; 0xc826141f
	.long	2337506269                      ; 0x8b5383dd
	.long	905453029                       ; 0x35f81de5
	.long	2504232400                      ; 0x95438dd0
	.long	258673393                       ; 0xf6b0af1
	.long	2590342355                      ; 0x9a657cd3
	.long	3308443353                      ; 0xc532d6d9
	;; [unrolled: 1-line block ×4, first 2 shown]
	.long	932545954                       ; 0x379585a2
	.long	509832408                       ; 0x1e636cd8
	;; [unrolled: 1-line block ×4, first 2 shown]
	.long	3434866166                      ; 0xccbbe5f6
	.long	1108455121                      ; 0x4211aed1
	.long	2802986572                      ; 0xa7122e4c
	.long	893446102                       ; 0x3540e7d6
	.long	3248197798                      ; 0xc19b90a6
	.long	1797985531                      ; 0x6b2b14fb
	.long	3952804303                      ; 0xeb9b01cf
	.long	558601278                       ; 0x214b943e
	.long	1813674114                      ; 0x6c1a7882
	.long	311050994                       ; 0x128a42f2
	.long	425175161                       ; 0x1957a879
	.long	1125527204                      ; 0x43162ea4
	.long	1597986581                      ; 0x5f3f5715
	;; [unrolled: 1-line block ×12, first 2 shown]
	.long	274595185                       ; 0x105dfd71
	.long	1890506924                      ; 0x70aed8ac
	.long	2631794527                      ; 0x9cddff5f
	;; [unrolled: 1-line block ×15, first 2 shown]
	.long	179748891                       ; 0xab6c01b
	.long	2911159372                      ; 0xad84c44c
	.long	191101265                       ; 0xb63f951
	.long	3389843262                      ; 0xca0ce73e
	.long	3093358663                      ; 0xb860e847
	;; [unrolled: 1-line block ×9, first 2 shown]
	.long	806669884                       ; 0x3014ce3c
	.long	596300960                       ; 0x238ad4a0
	.long	1993055778                      ; 0x76cb9e22
	.long	1541809402                      ; 0x5be624fa
	;; [unrolled: 1-line block ×3, first 2 shown]
	.long	652348267                       ; 0x26e20b6b
	.long	3332532764                      ; 0xc6a26a1c
	.long	2656602623                      ; 0x9e5889ff
	;; [unrolled: 1-line block ×3, first 2 shown]
	.long	323260312                       ; 0x13448f98
	.long	3310408133                      ; 0xc550d1c5
	.long	4037617529                      ; 0xf0a92779
	.long	137297627                       ; 0x82efedb
	.long	1236501991                      ; 0x49b385e7
	.long	495817051                       ; 0x1d8d915b
	.long	481150309                       ; 0x1cadc565
	.long	3067841968                      ; 0xb6db8db0
	.long	3120347176                      ; 0xb9fcb828
	.long	714354848                       ; 0x2a9430a0
	.long	1554632062                      ; 0x5ca9cd7e
	.long	2522324107                      ; 0x96579c8b
	;; [unrolled: 1-line block ×9, first 2 shown]
	.long	829235089                       ; 0x316d1f91
	.long	2243153325                      ; 0x85b3cdad
	.long	2525168177                      ; 0x96830231
	;; [unrolled: 1-line block ×3, first 2 shown]
	.long	585653228                       ; 0x22e85bec
	.long	3288336688                      ; 0xc4000930
	.long	2734161045                      ; 0xa2f7fc95
	.long	30430534                        ; 0x1d05546
	.long	714492313                       ; 0x2a964999
	.long	2582732426                      ; 0x99f15e8a
	.long	595577790                       ; 0x237fcbbe
	.long	1463554287                      ; 0x573c10ef
	.long	1949506865                      ; 0x74331d31
	;; [unrolled: 1-line block ×6, first 2 shown]
	.long	319064177                       ; 0x13048871
	.long	2305067982                      ; 0x89648bce
	.long	3825716413                      ; 0xe407ccbd
	;; [unrolled: 1-line block ×3, first 2 shown]
	.long	108979478                       ; 0x67ee516
	.long	3089716545                      ; 0xb8295541
	.long	2921391708                      ; 0xae20e65c
	;; [unrolled: 1-line block ×14, first 2 shown]
	.long	618903690                       ; 0x24e3b88a
	.long	2475611092                      ; 0x938ed3d4
	.long	2621430634                      ; 0x9c3fdb6a
	;; [unrolled: 1-line block ×9, first 2 shown]
	.long	588281768                       ; 0x231077a8
	.long	3603925285                      ; 0xd6cf8925
	.long	1187721841                      ; 0x46cb3271
	;; [unrolled: 1-line block ×14, first 2 shown]
	.long	534637095                       ; 0x1fddea27
	.long	1860006723                      ; 0x6edd7343
	.long	3416402670                      ; 0xcba22aee
	.long	802354899                       ; 0x2fd2f6d3
	.long	3998709605                      ; 0xee577765
	.long	3944315555                      ; 0xeb197aa3
	;; [unrolled: 1-line block ×4, first 2 shown]
	.long	488532673                       ; 0x1d1e6ac1
	.long	3063734121                      ; 0xb69cdf69
	.long	1318974867                      ; 0x4e9df593
	.long	187087202                       ; 0xb26b962
	.long	200160693                       ; 0xbee35b5
	.long	4170479404                      ; 0xf894772c
	.long	782764886                       ; 0x2ea80b56
	.long	4007973657                      ; 0xeee4d319
	.long	1651636372                      ; 0x6271f894
	;; [unrolled: 1-line block ×5, first 2 shown]
	.long	230704223                       ; 0xdc0445f
	.long	3342587983                      ; 0xc73bd84f
	.long	1093085714                      ; 0x41272a12
	.long	683877298                       ; 0x28c323b2
	.long	3635026316                      ; 0xd8aa198c
	.long	3839461209                      ; 0xe4d98759
	;; [unrolled: 1-line block ×14, first 2 shown]
	.long	112739894                       ; 0x6b84636
	.long	4052025045                      ; 0xf184fed5
	.long	1396839113                      ; 0x534212c9
	.long	212349044                       ; 0xca83074
	.long	110706825                       ; 0x6994089
	.long	2185320852                      ; 0x82415994
	.long	2540909191                      ; 0x97733287
	;; [unrolled: 1-line block ×7, first 2 shown]
	.long	149304348                       ; 0x8e6341c
	.long	2755670869                      ; 0xa4403355
	.long	930137412                       ; 0x3770c544
	.long	350687475                       ; 0x14e710f3
	.long	1512442864                      ; 0x5a260bf0
	.long	3764389325                      ; 0xe06005cd
	;; [unrolled: 1-line block ×3, first 2 shown]
	.long	276147411                       ; 0x1075acd3
	.long	2268414314                      ; 0x8735416a
	.long	30674096                        ; 0x1d40cb0
	.long	3202650841                      ; 0xbee492d9
	.long	3446821592                      ; 0xcd7252d8
	.long	3341145621                      ; 0xc725d615
	.long	3749209259                      ; 0xdf7864ab
	.long	674361204                       ; 0x2831ef74
	.long	1384681012                      ; 0x52888e34
	.long	2716655878                      ; 0xa1ece106
	.long	454169262                       ; 0x1b1212ae
	.long	289282175                       ; 0x113e187f
	;; [unrolled: 1-line block ×3, first 2 shown]
	.long	3052791893                      ; 0xb5f5e855
	.long	3111969089                      ; 0xb97ce141
	;; [unrolled: 1-line block ×15, first 2 shown]
	.long	797579212                       ; 0x2f8a17cc
	.long	1645601877                      ; 0x6215e455
	.long	3579805998                      ; 0xd55f812e
	.long	797556690                       ; 0x2f89bfd2
	.long	4106236617                      ; 0xf4c032c9
	.long	1379943929                      ; 0x524045f9
	.long	129105346                       ; 0x7b1fdc2
	.long	3950170317                      ; 0xeb72d0cd
	.long	723231430                       ; 0x2b1ba2c6
	.long	88997404                        ; 0x54dfe1c
	.long	2591283275                      ; 0x9a73d84b
	.long	359831168                       ; 0x15729680
	.long	306903531                       ; 0x124af9eb
	.long	1987846974                      ; 0x767c233e
	.long	2654779951                      ; 0x9e3cba2f
	;; [unrolled: 1-line block ×17, first 2 shown]
	.long	575328723                       ; 0x224ad1d3
	.long	359319532                       ; 0x156ac7ec
	.long	2458971265                      ; 0x9290ec81
	.long	3159207510                      ; 0xbc4dae56
	.long	387883436                       ; 0x171ea1ac
	.long	2521400838                      ; 0x96498606
	.long	2359639886                      ; 0x8ca53f4e
	;; [unrolled: 3-line block ×3, first 2 shown]
	.long	2387198764                      ; 0x8e49c32c
	.long	3619233779                      ; 0xd7b91ff3
	;; [unrolled: 1-line block ×8, first 2 shown]
	.long	386502519                       ; 0x17098f77
	.long	2557524017                      ; 0x9870b831
	.long	1857180133                      ; 0x6eb251e5
	.long	618903690                       ; 0x24e3b88a
	.long	2475611092                      ; 0x938ed3d4
	.long	30080431                        ; 0x1cafdaf
	.long	2084292404                      ; 0x7c3bc734
	.long	1698607774                      ; 0x653eb29e
	;; [unrolled: 1-line block ×7, first 2 shown]
	.long	588281768                       ; 0x231077a8
	.long	3603925285                      ; 0xd6cf8925
	.long	238328161                       ; 0xe349961
	.long	1307962320                      ; 0x4df5ebd0
	.long	2562217840                      ; 0x98b85770
	;; [unrolled: 1-line block ×12, first 2 shown]
	.long	534637095                       ; 0x1fddea27
	.long	1860006723                      ; 0x6edd7343
	.long	652336168                       ; 0x26e1dc28
	.long	802354899                       ; 0x2fd2f6d3
	.long	3998709605                      ; 0xee577765
	.long	3944315555                      ; 0xeb197aa3
	;; [unrolled: 1-line block ×4, first 2 shown]
	.long	488532673                       ; 0x1d1e6ac1
	.long	3063734121                      ; 0xb69cdf69
	.long	1318974867                      ; 0x4e9df593
	.long	187087202                       ; 0xb26b962
	.long	1106075322                      ; 0x41ed5eba
	.long	4170479404                      ; 0xf894772c
	;; [unrolled: 3-line block ×3, first 2 shown]
	.long	2404132022                      ; 0x8f4c24b6
	.long	2085263921                      ; 0x7c4a9a31
	;; [unrolled: 1-line block ×3, first 2 shown]
	.long	230704223                       ; 0xdc0445f
	.long	3342587983                      ; 0xc73bd84f
	.long	918664020                       ; 0x36c1b354
	.long	683877298                       ; 0x28c323b2
	.long	3635026316                      ; 0xd8aa198c
	.long	3839461209                      ; 0xe4d98759
	.long	2977567556                      ; 0xb17a1344
	.long	1943458501                      ; 0x73d6d2c5
	.long	3767172681                      ; 0xe08a7e49
	.long	1350679624                      ; 0x5081bc48
	.long	3541409523                      ; 0xd3159ef3
	.long	3975162472                      ; 0xecf02a68
	.long	276593262                       ; 0x107c7a6e
	.long	3287828387                      ; 0xc3f847a3
	.long	1565768431                      ; 0x5d53baef
	;; [unrolled: 1-line block ×5, first 2 shown]
	.long	112739894                       ; 0x6b84636
	.long	4052025045                      ; 0xf184fed5
	.long	1396839113                      ; 0x534212c9
	.long	212349044                       ; 0xca83074
	.long	4056830215                      ; 0xf1ce5107
	.long	2185320852                      ; 0x82415994
	;; [unrolled: 1-line block ×8, first 2 shown]
	.long	149304348                       ; 0x8e6341c
	.long	2755670869                      ; 0xa4403355
	.long	3578672658                      ; 0xd54e3612
	.long	350687475                       ; 0x14e710f3
	.long	1512442864                      ; 0x5a260bf0
	.long	3764389325                      ; 0xe06005cd
	;; [unrolled: 1-line block ×5, first 2 shown]
	.long	30674096                        ; 0x1d40cb0
	.long	3202650841                      ; 0xbee492d9
	.long	3446821592                      ; 0xcd7252d8
	;; [unrolled: 1-line block ×4, first 2 shown]
	.long	674361204                       ; 0x2831ef74
	.long	1384681012                      ; 0x52888e34
	.long	2716655878                      ; 0xa1ece106
	;; [unrolled: 1-line block ×3, first 2 shown]
	.long	289282175                       ; 0x113e187f
	.long	966029495                       ; 0x399470b7
	.long	3052791893                      ; 0xb5f5e855
	.long	3111969089                      ; 0xb97ce141
	;; [unrolled: 1-line block ×7, first 2 shown]
	.long	558548232                       ; 0x214ac508
	.long	3337397349                      ; 0xc6eca465
	.long	2392730459                      ; 0x8e9e2b5b
	;; [unrolled: 1-line block ×7, first 2 shown]
	.long	797579212                       ; 0x2f8a17cc
	.long	1645601877                      ; 0x6215e455
	.long	1754284241                      ; 0x689040d1
	.long	797556690                       ; 0x2f89bfd2
	.long	4106236617                      ; 0xf4c032c9
	.long	1379943929                      ; 0x524045f9
	.long	129105346                       ; 0x7b1fdc2
	.long	1072954804                      ; 0x3ff3fdb4
	.long	723231430                       ; 0x2b1ba2c6
	.long	88997404                        ; 0x54dfe1c
	.long	2591283275                      ; 0x9a73d84b
	.long	359831168                       ; 0x15729680
	.long	3790749526                      ; 0xe1f23f56
	.long	1987846974                      ; 0x767c233e
	;; [unrolled: 1-line block ×5, first 2 shown]
	.long	529478744                       ; 0x1f8f3458
	.long	3586751806                      ; 0xd5c97d3e
	.long	2045807380                      ; 0x79f08b14
	;; [unrolled: 1-line block ×12, first 2 shown]
	.long	575328723                       ; 0x224ad1d3
	.long	359319532                       ; 0x156ac7ec
	.long	4185709932                      ; 0xf97cdd6c
	.long	3159207510                      ; 0xbc4dae56
	.long	387883436                       ; 0x171ea1ac
	.long	2521400838                      ; 0x96498606
	.long	2359639886                      ; 0x8ca53f4e
	;; [unrolled: 3-line block ×3, first 2 shown]
	.long	2387198764                      ; 0x8e49c32c
	.long	3619233779                      ; 0xd7b91ff3
	;; [unrolled: 1-line block ×8, first 2 shown]
	.long	386502519                       ; 0x17098f77
	.long	2557524017                      ; 0x9870b831
	.long	1857180133                      ; 0x6eb251e5
	.long	618903690                       ; 0x24e3b88a
	.long	113530176                       ; 0x6c45540
	.long	30080431                        ; 0x1cafdaf
	.long	2084292404                      ; 0x7c3bc734
	.long	1698607774                      ; 0x653eb29e
	;; [unrolled: 1-line block ×7, first 2 shown]
	.long	588281768                       ; 0x231077a8
	.long	145530757                       ; 0x8ac9f85
	;; [unrolled: 1-line block ×3, first 2 shown]
	.long	1307962320                      ; 0x4df5ebd0
	.long	2562217840                      ; 0x98b85770
	;; [unrolled: 1-line block ×12, first 2 shown]
	.long	534637095                       ; 0x1fddea27
	.long	1759744354                      ; 0x68e39162
	.long	652336168                       ; 0x26e1dc28
	.long	802354899                       ; 0x2fd2f6d3
	.long	3998709605                      ; 0xee577765
	.long	3944315555                      ; 0xeb197aa3
	;; [unrolled: 1-line block ×4, first 2 shown]
	.long	488532673                       ; 0x1d1e6ac1
	.long	3063734121                      ; 0xb69cdf69
	.long	1318974867                      ; 0x4e9df593
	.long	728549366                       ; 0x2b6cc7f6
	.long	1106075322                      ; 0x41ed5eba
	.long	4170479404                      ; 0xf894772c
	;; [unrolled: 3-line block ×3, first 2 shown]
	.long	2404132022                      ; 0x8f4c24b6
	.long	2085263921                      ; 0x7c4a9a31
	;; [unrolled: 1-line block ×3, first 2 shown]
	.long	230704223                       ; 0xdc0445f
	.long	3329510499                      ; 0xc6744c63
	.long	918664020                       ; 0x36c1b354
	.long	683877298                       ; 0x28c323b2
	.long	3635026316                      ; 0xd8aa198c
	.long	3839461209                      ; 0xe4d98759
	.long	79335966                        ; 0x4ba921e
	.long	1943458501                      ; 0x73d6d2c5
	.long	3767172681                      ; 0xe08a7e49
	;; [unrolled: 1-line block ×4, first 2 shown]
	.long	925084463                       ; 0x3723ab2f
	.long	276593262                       ; 0x107c7a6e
	.long	3287828387                      ; 0xc3f847a3
	.long	1565768431                      ; 0x5d53baef
	;; [unrolled: 1-line block ×5, first 2 shown]
	.long	112739894                       ; 0x6b84636
	.long	4052025045                      ; 0xf184fed5
	.long	1396839113                      ; 0x534212c9
	.long	865124022                       ; 0x3390beb6
	.long	4056830215                      ; 0xf1ce5107
	.long	2185320852                      ; 0x82415994
	;; [unrolled: 1-line block ×4, first 2 shown]
	.long	408329043                       ; 0x18569b53
	.long	1542171596                      ; 0x5bebabcc
	.long	1243549180                      ; 0x4a1f0dfc
	;; [unrolled: 1-line block ×3, first 2 shown]
	.long	149304348                       ; 0x8e6341c
	.long	3549625626                      ; 0xd392fd1a
	.long	3578672658                      ; 0xd54e3612
	.long	350687475                       ; 0x14e710f3
	.long	1512442864                      ; 0x5a260bf0
	.long	3764389325                      ; 0xe06005cd
	;; [unrolled: 1-line block ×5, first 2 shown]
	.long	30674096                        ; 0x1d40cb0
	.long	3202650841                      ; 0xbee492d9
	.long	1591955495                      ; 0x5ee35027
	;; [unrolled: 1-line block ×4, first 2 shown]
	.long	674361204                       ; 0x2831ef74
	.long	1384681012                      ; 0x52888e34
	.long	4064148122                      ; 0xf23dfa9a
	;; [unrolled: 1-line block ×3, first 2 shown]
	.long	289282175                       ; 0x113e187f
	.long	966029495                       ; 0x399470b7
	.long	3052791893                      ; 0xb5f5e855
	.long	1370867977                      ; 0x51b5c909
	;; [unrolled: 1-line block ×7, first 2 shown]
	.long	558548232                       ; 0x214ac508
	.long	3337397349                      ; 0xc6eca465
	.long	2392730459                      ; 0x8e9e2b5b
	;; [unrolled: 1-line block ×7, first 2 shown]
	.long	797579212                       ; 0x2f8a17cc
	.long	3928348491                      ; 0xea25d74b
	.long	1754284241                      ; 0x689040d1
	.long	797556690                       ; 0x2f89bfd2
	.long	4106236617                      ; 0xf4c032c9
	.long	1379943929                      ; 0x524045f9
	.long	535801204                       ; 0x1fefad74
	.long	1072954804                      ; 0x3ff3fdb4
	.long	723231430                       ; 0x2b1ba2c6
	.long	88997404                        ; 0x54dfe1c
	.long	2591283275                      ; 0x9a73d84b
	.long	3834650337                      ; 0xe4901ee1
	;; [unrolled: 1-line block ×7, first 2 shown]
	.long	529478744                       ; 0x1f8f3458
	.long	3586751806                      ; 0xd5c97d3e
	.long	2045807380                      ; 0x79f08b14
	;; [unrolled: 1-line block ×8, first 2 shown]
	.long	234512721                       ; 0xdfa6151
	.long	2510614710                      ; 0x95a4f0b6
	.long	1536493323                      ; 0x5b95070b
	;; [unrolled: 1-line block ×3, first 2 shown]
	.long	575328723                       ; 0x224ad1d3
	.long	3997395999                      ; 0xee436c1f
	.long	4185709932                      ; 0xf97cdd6c
	;; [unrolled: 1-line block ×3, first 2 shown]
	.long	387883436                       ; 0x171ea1ac
	.long	2521400838                      ; 0x96498606
	.long	3125399953                      ; 0xba49d191
	.long	143795416                       ; 0x89224d8
	.long	2094643916                      ; 0x7cd9bacc
	.long	2269112547                      ; 0x873fe8e3
	;; [unrolled: 1-line block ×3, first 2 shown]
	.long	652167990                       ; 0x26df4b36
	.long	2856133500                      ; 0xaa3d237c
	.long	2910774311                      ; 0xad7ee427
	;; [unrolled: 1-line block ×6, first 2 shown]
	.long	386502519                       ; 0x17098f77
	.long	2557524017                      ; 0x9870b831
	.long	1857180133                      ; 0x6eb251e5
	;; [unrolled: 1-line block ×3, first 2 shown]
	.long	113530176                       ; 0x6c45540
	.long	30080431                        ; 0x1cafdaf
	.long	2084292404                      ; 0x7c3bc734
	.long	1698607774                      ; 0x653eb29e
	.long	391246724                       ; 0x1751f384
	.long	1446640841                      ; 0x5639fcc9
	.long	1158684464                      ; 0x45101f30
	;; [unrolled: 1-line block ×5, first 2 shown]
	.long	145530757                       ; 0x8ac9f85
	.long	238328161                       ; 0xe349961
	.long	1307962320                      ; 0x4df5ebd0
	.long	2562217840                      ; 0x98b85770
	;; [unrolled: 1-line block ×14, first 2 shown]
	.long	652336168                       ; 0x26e1dc28
	.long	802354899                       ; 0x2fd2f6d3
	.long	3998709605                      ; 0xee577765
	.long	1781938823                      ; 0x6a363a87
	;; [unrolled: 1-line block ×4, first 2 shown]
	.long	488532673                       ; 0x1d1e6ac1
	.long	3063734121                      ; 0xb69cdf69
	.long	3539633540                      ; 0xd2fa8584
	.long	728549366                       ; 0x2b6cc7f6
	.long	1106075322                      ; 0x41ed5eba
	.long	4170479404                      ; 0xf894772c
	;; [unrolled: 3-line block ×3, first 2 shown]
	.long	2404132022                      ; 0x8f4c24b6
	.long	2085263921                      ; 0x7c4a9a31
	;; [unrolled: 1-line block ×5, first 2 shown]
	.long	918664020                       ; 0x36c1b354
	.long	683877298                       ; 0x28c323b2
	.long	3635026316                      ; 0xd8aa198c
	.long	2918953355                      ; 0xadfbb18b
	.long	79335966                        ; 0x4ba921e
	.long	1943458501                      ; 0x73d6d2c5
	.long	3767172681                      ; 0xe08a7e49
	;; [unrolled: 1-line block ×3, first 2 shown]
	.long	341369607                       ; 0x1458e307
	.long	925084463                       ; 0x3723ab2f
	;; [unrolled: 1-line block ×3, first 2 shown]
	.long	3287828387                      ; 0xc3f847a3
	.long	1565768431                      ; 0x5d53baef
	;; [unrolled: 1-line block ×5, first 2 shown]
	.long	112739894                       ; 0x6b84636
	.long	4052025045                      ; 0xf184fed5
	.long	1847440090                      ; 0x6e1db2da
	.long	865124022                       ; 0x3390beb6
	.long	4056830215                      ; 0xf1ce5107
	.long	2185320852                      ; 0x82415994
	;; [unrolled: 1-line block ×4, first 2 shown]
	.long	408329043                       ; 0x18569b53
	.long	1542171596                      ; 0x5bebabcc
	.long	1243549180                      ; 0x4a1f0dfc
	;; [unrolled: 1-line block ×3, first 2 shown]
	.long	179432054                       ; 0xab1ea76
	.long	3549625626                      ; 0xd392fd1a
	.long	3578672658                      ; 0xd54e3612
	.long	350687475                       ; 0x14e710f3
	.long	1512442864                      ; 0x5a260bf0
	.long	2118138924                      ; 0x7e403c2c
	;; [unrolled: 1-line block ×5, first 2 shown]
	.long	30674096                        ; 0x1d40cb0
	.long	2317064191                      ; 0x8a1b97ff
	.long	1591955495                      ; 0x5ee35027
	;; [unrolled: 1-line block ×4, first 2 shown]
	.long	674361204                       ; 0x2831ef74
	.long	3286542168                      ; 0xc3e4a758
	.long	4064148122                      ; 0xf23dfa9a
	;; [unrolled: 1-line block ×3, first 2 shown]
	.long	289282175                       ; 0x113e187f
	.long	966029495                       ; 0x399470b7
	.long	1327408800                      ; 0x4f1ea6a0
	.long	1370867977                      ; 0x51b5c909
	;; [unrolled: 1-line block ×5, first 2 shown]
	.long	405707683                       ; 0x182e9ba3
	.long	4021792514                      ; 0xefb7af02
	.long	558548232                       ; 0x214ac508
	.long	3337397349                      ; 0xc6eca465
	.long	2392730459                      ; 0x8e9e2b5b
	;; [unrolled: 1-line block ×10, first 2 shown]
	.long	797556690                       ; 0x2f89bfd2
	.long	4106236617                      ; 0xf4c032c9
	.long	2665938417                      ; 0x9ee6fdf1
	.long	535801204                       ; 0x1fefad74
	.long	1072954804                      ; 0x3ff3fdb4
	.long	723231430                       ; 0x2b1ba2c6
	.long	88997404                        ; 0x54dfe1c
	.long	3006584290                      ; 0xb334d5e2
	.long	3834650337                      ; 0xe4901ee1
	;; [unrolled: 1-line block ×7, first 2 shown]
	.long	529478744                       ; 0x1f8f3458
	.long	3586751806                      ; 0xd5c97d3e
	.long	2045807380                      ; 0x79f08b14
	;; [unrolled: 1-line block ×8, first 2 shown]
	.long	234512721                       ; 0xdfa6151
	.long	2510614710                      ; 0x95a4f0b6
	.long	1536493323                      ; 0x5b95070b
	;; [unrolled: 1-line block ×7, first 2 shown]
	.long	387883436                       ; 0x171ea1ac
	.long	3979684113                      ; 0xed352911
	.long	3125399953                      ; 0xba49d191
	.long	143795416                       ; 0x89224d8
	.long	2094643916                      ; 0x7cd9bacc
	.long	2269112547                      ; 0x873fe8e3
	;; [unrolled: 1-line block ×8, first 2 shown]
	.long	992969238                       ; 0x3b2f8216
	.long	2196610884                      ; 0x82ed9f44
	.long	1333868752                      ; 0x4f8138d0
	;; [unrolled: 1-line block ×4, first 2 shown]
	.long	533478044                       ; 0x1fcc3a9c
	.long	291720336                       ; 0x11634c90
	.long	3552502714                      ; 0xd3bee3ba
	.long	1060260388                      ; 0x3f324a24
	.long	1389737501                      ; 0x52d5b61d
	.long	3508724089                      ; 0xd122e179
	.long	3106493936                      ; 0xb92955f0
	.long	2013154532                      ; 0x77fe4ce4
	.long	3169850047                      ; 0xbcf012bf
	.long	3773175439                      ; 0xe0e6168f
	.long	3604033115                      ; 0xd6d12e5b
	.long	4234678017                      ; 0xfc680f01
	.long	2903156223                      ; 0xad0aa5ff
	.long	3832188501                      ; 0xe46a8e55
	.long	2874956773                      ; 0xab5c5be5
	.long	4283805552                      ; 0xff55af70
	.long	3664062691                      ; 0xda6528e3
	.long	1974738248                      ; 0x75b41d48
	.long	925764827                       ; 0x372e0cdb
	.long	1750660924                      ; 0x6858f73c
	.long	141239116                       ; 0x86b234c
	.long	3273085573                      ; 0xc3175285
	.long	2427940522                      ; 0x90b76eaa
	;; [unrolled: 1-line block ×9, first 2 shown]
	.long	571850463                       ; 0x2215bedf
	.long	1599484831                      ; 0x5f56339f
	.long	76923002                        ; 0x495c07a
	.long	3077572436                      ; 0xb7700754
	.long	4086821865                      ; 0xf397f3e9
	;; [unrolled: 1-line block ×3, first 2 shown]
	.long	480304732                       ; 0x1ca0de5c
	.long	476538774                       ; 0x1c676796
	.long	2169116383                      ; 0x814a16df
	.long	4033618691                      ; 0xf06c2303
	;; [unrolled: 1-line block ×4, first 2 shown]
	.long	747450871                       ; 0x2c8d31f7
	.long	1851448547                      ; 0x6e5adce3
	.long	713503330                       ; 0x2a873262
	.long	3709263622                      ; 0xdd16df06
	;; [unrolled: 2-line block ×3, first 2 shown]
	.long	2933719965                      ; 0xaedd039d
	.long	4057398020                      ; 0xf1d6fb04
	;; [unrolled: 1-line block ×3, first 2 shown]
	.long	689436820                       ; 0x2917f894
	.long	2935729647                      ; 0xaefbadef
	.long	2030357428                      ; 0x7904cbb4
	;; [unrolled: 1-line block ×9, first 2 shown]
	.long	159450674                       ; 0x9810632
	.long	1050507045                      ; 0x3e9d7725
	.long	566046625                       ; 0x21bd2fa1
	.long	2253420120                      ; 0x86507658
	;; [unrolled: 2-line block ×3, first 2 shown]
	.long	4081490982                      ; 0xf3469c26
	.long	1427186514                      ; 0x55112352
	.long	2535536470                      ; 0x97213756
	.long	3869316947                      ; 0xe6a11753
	.long	4097476542                      ; 0xf43a87be
	.long	930420754                       ; 0x37751812
	.long	2519255367                      ; 0x9628c947
	.long	49908928                        ; 0x2f98cc0
	.long	454325685                       ; 0x1b1475b5
	.long	888118139                       ; 0x34ef9b7b
	.long	3453892181                      ; 0xcdde3655
	.long	1263601461                      ; 0x4b510735
	;; [unrolled: 1-line block ×3, first 2 shown]
	.long	674943665                       ; 0x283ad2b1
	.long	1648077470                      ; 0x623baa9e
	.long	429399730                       ; 0x19981eb2
	.long	2904879506                      ; 0xad24f192
	.long	3718410520                      ; 0xdda27118
	;; [unrolled: 1-line block ×4, first 2 shown]
	.long	605480672                       ; 0x2416e6e0
	.long	774749173                       ; 0x2e2dbbf5
	.long	3200570514                      ; 0xbec4d492
	.long	181210046                       ; 0xacd0bbe
	.long	2560898144                      ; 0x98a43460
	.long	3947027625                      ; 0xeb42dca9
	;; [unrolled: 1-line block ×3, first 2 shown]
	.long	324801283                       ; 0x135c1303
	.long	4234744788                      ; 0xfc6913d4
	.long	746560316                       ; 0x2c7f9b3c
	.long	2456297875                      ; 0x92682193
	.long	3925756080                      ; 0xe9fe48b0
	.long	533997731                       ; 0x1fd428a3
	.long	3919796086                      ; 0xe9a35776
	.long	662975152                       ; 0x278432b0
	.long	864661066                       ; 0x3389ae4a
	.long	1070894403                      ; 0x3fd48d43
	.long	1020445801                      ; 0x3cd2c469
	;; [unrolled: 1-line block ×10, first 2 shown]
	.long	840264605                       ; 0x32156b9d
	.long	2687215223                      ; 0xa02ba677
	.long	2174960097                      ; 0x81a341e1
	;; [unrolled: 1-line block ×6, first 2 shown]
	.long	563137220                       ; 0x2190cac4
	.long	893868530                       ; 0x354759f2
	.long	3400632172                      ; 0xcab1876c
	.long	1538627830                      ; 0x5bb598f6
	.long	2812510298                      ; 0xa7a3805a
	.long	496662288                       ; 0x1d9a7710
	.long	2317289974                      ; 0x8a1f09f6
	.long	2252393722                      ; 0x8640ccfa
	;; [unrolled: 1-line block ×4, first 2 shown]
	.long	402670890                       ; 0x1800452a
	.long	1528570045                      ; 0x5b1c20bd
	.long	3160531718                      ; 0xbc61e306
	.long	1806492066                      ; 0x6bace1a2
	.long	3211663975                      ; 0xbf6e1a67
	.long	3617025598                      ; 0xd7976e3e
	.long	3664580463                      ; 0xda6d0f6f
	.long	1338638297                      ; 0x4fc9ffd9
	.long	341637330                       ; 0x145cf8d2
	.long	2097019728                      ; 0x7cfdfb50
	.long	4031221207                      ; 0xf0478dd7
	.long	503636424                       ; 0x1e04e1c8
	.long	3883416740                      ; 0xe7783ca4
	.long	1530237682                      ; 0x5b3592f2
	;; [unrolled: 1-line block ×4, first 2 shown]
	.long	332460372                       ; 0x13d0f154
	.long	457364876                       ; 0x1b42d58c
	.long	1738239808                      ; 0x679b6f40
	.long	1118787884                      ; 0x42af592c
	;; [unrolled: 1-line block ×8, first 2 shown]
	.long	163554565                       ; 0x9bfa505
	.long	3928803020                      ; 0xea2cc6cc
	.long	2632714628                      ; 0x9cec0984
	.long	1386788970                      ; 0x52a8b86a
	.long	2621928183                      ; 0x9c4772f7
	.long	2855206157                      ; 0xaa2efd0d
	.long	2989018213                      ; 0xb228cc65
	.long	1836814260                      ; 0x6d7b8fb4
	.long	4197635108                      ; 0xfa32d424
	.long	1030118238                      ; 0x3d665b5e
	.long	2789863793                      ; 0xa649f171
	.long	2063944689                      ; 0x7b054bf1
	.long	1647608366                      ; 0x6234822e
	.long	255485979                       ; 0xf3a681b
	.long	3657534664                      ; 0xda018cc8
	.long	1317185871                      ; 0x4e82a94f
	;; [unrolled: 1-line block ×4, first 2 shown]
	.long	907575923                       ; 0x36188273
	.long	4132859581                      ; 0xf6566ebd
	.long	416269582                       ; 0x18cfc50e
	.long	877554291                       ; 0x344e6a73
	;; [unrolled: 1-line block ×3, first 2 shown]
	.long	2236014545                      ; 0x8546dfd1
	.long	992386759                       ; 0x3b269ec7
	.long	3971362318                      ; 0xecb62e0e
	.long	2173597771                      ; 0x818e784b
	;; [unrolled: 1-line block ×6, first 2 shown]
	.long	319182848                       ; 0x13065800
	.long	1562235776                      ; 0x5d1dd380
	.long	463522324                       ; 0x1ba0ca14
	.long	1482338913                      ; 0x585ab261
	.long	1816432405                      ; 0x6c448f15
	;; [unrolled: 1-line block ×4, first 2 shown]
	.long	171265751                       ; 0xa354ed7
	.long	2249118654                      ; 0x860ed3be
	.long	1153849045                      ; 0x44c656d5
	;; [unrolled: 1-line block ×6, first 2 shown]
	.long	623675874                       ; 0x252c89e2
	.long	3608469129                      ; 0xd714de89
	.long	978093004                       ; 0x3a4c83cc
	.long	1283228910                      ; 0x4c7c84ee
	.long	1810859539                      ; 0x6bef8613
	;; [unrolled: 1-line block ×6, first 2 shown]
	.long	376788629                       ; 0x16755695
	.long	314507445                       ; 0x12bf00b5
	;; [unrolled: 1-line block ×4, first 2 shown]
	.long	2994990779                      ; 0xb283eebb
	.long	1035692306                      ; 0x3dbb6912
	;; [unrolled: 1-line block ×6, first 2 shown]
	.long	939691799                       ; 0x38028f17
	.long	3080056566                      ; 0xb795eef6
	.long	3741305118                      ; 0xdeffc91e
	;; [unrolled: 1-line block ×3, first 2 shown]
	.long	65327713                        ; 0x3e4d261
	.long	3884301346                      ; 0xe785bc22
	.long	2536445014                      ; 0x972f1456
	;; [unrolled: 1-line block ×9, first 2 shown]
	.long	480342712                       ; 0x1ca172b8
	.long	451634742                       ; 0x1aeb6636
	.long	3562778450                      ; 0xd45baf52
	.long	1943708078                      ; 0x73daa1ae
	.long	660077747                       ; 0x2757fcb3
	.long	434714388                       ; 0x19e93714
	.long	2369278293                      ; 0x8d385155
	.long	2894425895                      ; 0xac856f27
	;; [unrolled: 1-line block ×4, first 2 shown]
	.long	551196237                       ; 0x20da964d
	.long	4193980239                      ; 0xf9fb0f4f
	.long	2952382875                      ; 0xaff9c99b
	;; [unrolled: 1-line block ×20, first 2 shown]
	.long	422675402                       ; 0x193183ca
	.long	477894725                       ; 0x1c7c1845
	.long	3398641827                      ; 0xca9328a3
	.long	1366451030                      ; 0x51726356
	;; [unrolled: 1-line block ×4, first 2 shown]
	.long	35700837                        ; 0x220c065
	.long	2937170986                      ; 0xaf11ac2a
	.long	1336296570                      ; 0x4fa6447a
	;; [unrolled: 1-line block ×3, first 2 shown]
	.long	587724229                       ; 0x2307f5c5
	.long	2051237478                      ; 0x7a436666
	.long	3539754304                      ; 0xd2fc5d40
	;; [unrolled: 1-line block ×4, first 2 shown]
	.long	144772179                       ; 0x8a10c53
	.long	353408424                       ; 0x151095a8
	.long	3493806256                      ; 0xd03f40b0
	.long	3782958493                      ; 0xe17b5d9d
	;; [unrolled: 1-line block ×3, first 2 shown]
	.long	228084488                       ; 0xd984b08
	.long	192277278                       ; 0xb75eb1e
	.long	3612092522                      ; 0xd74c286a
	.long	2235069734                      ; 0x85387526
	.long	467407503                       ; 0x1bdc128f
	.long	3391861572                      ; 0xca2bb344
	.long	847810786                       ; 0x328890e2
	.long	1838763654                      ; 0x6d994e86
	.long	2272109211                      ; 0x876da29b
	;; [unrolled: 1-line block ×9, first 2 shown]
	.long	714311566                       ; 0x2a93878e
	.long	1346246305                      ; 0x503e16a1
	.long	2865157059                      ; 0xaac6d3c3
	.long	2989587005                      ; 0xb2317a3d
	.long	3946819548                      ; 0xeb3fafdc
	.long	3109244860                      ; 0xb9534fbc
	.long	3885124598                      ; 0xe7924bf6
	.long	3314346978                      ; 0xc58cebe2
	.long	952826829                       ; 0x38cafbcd
	.long	1118787884                      ; 0x42af592c
	.long	1884590246                      ; 0x705490a6
	.long	1007052798                      ; 0x3c0667fe
	.long	3717680750                      ; 0xdd974e6e
	.long	1521451317                      ; 0x5aaf8135
	.long	2486654530                      ; 0x94375642
	.long	2761168910                      ; 0xa494180e
	;; [unrolled: 8-line block ×3, first 2 shown]
	.long	4197635108                      ; 0xfa32d424
	.long	1030118238                      ; 0x3d665b5e
	;; [unrolled: 1-line block ×5, first 2 shown]
	.long	255485979                       ; 0xf3a681b
	.long	3657534664                      ; 0xda018cc8
	.long	1317185871                      ; 0x4e82a94f
	;; [unrolled: 1-line block ×4, first 2 shown]
	.long	907575923                       ; 0x36188273
	.long	4132859581                      ; 0xf6566ebd
	.long	416269582                       ; 0x18cfc50e
	.long	877554291                       ; 0x344e6a73
	.long	2338964683                      ; 0x8b69c4cb
	.long	2236014545                      ; 0x8546dfd1
	.long	992386759                       ; 0x3b269ec7
	.long	3971362318                      ; 0xecb62e0e
	.long	2173597771                      ; 0x818e784b
	;; [unrolled: 3-line block ×3, first 2 shown]
	.long	3809530180                      ; 0xe310d144
	.long	319182848                       ; 0x13065800
	.long	3090313228                      ; 0xb832700c
	.long	463522324                       ; 0x1ba0ca14
	.long	1482338913                      ; 0x585ab261
	.long	1816432405                      ; 0x6c448f15
	;; [unrolled: 1-line block ×4, first 2 shown]
	.long	171265751                       ; 0xa354ed7
	.long	2249118654                      ; 0x860ed3be
	.long	1153849045                      ; 0x44c656d5
	;; [unrolled: 1-line block ×6, first 2 shown]
	.long	623675874                       ; 0x252c89e2
	.long	3608469129                      ; 0xd714de89
	.long	3096087202                      ; 0xb88a8aa2
	.long	1283228910                      ; 0x4c7c84ee
	.long	1810859539                      ; 0x6bef8613
	.long	1179125634                      ; 0x46480782
	.long	2939039286                      ; 0xaf2e2e36
	.long	2601862091                      ; 0x9b1543cb
	.long	1168357273                      ; 0x45a3b799
	.long	376788629                       ; 0x16755695
	.long	314507445                       ; 0x12bf00b5
	;; [unrolled: 1-line block ×3, first 2 shown]
	.long	1174181426                      ; 0x45fc9632
	.long	2994990779                      ; 0xb283eebb
	;; [unrolled: 1-line block ×5, first 2 shown]
	.long	752017703                       ; 0x2cd2e127
	.long	1815095408                      ; 0x6c302870
	.long	939691799                       ; 0x38028f17
	.long	3080056566                      ; 0xb795eef6
	.long	3741305118                      ; 0xdeffc91e
	.long	126135654                       ; 0x784ad66
	.long	65327713                        ; 0x3e4d261
	.long	3884301346                      ; 0xe785bc22
	.long	2536445014                      ; 0x972f1456
	;; [unrolled: 1-line block ×3, first 2 shown]
	.long	955981361                       ; 0x38fb1e31
	.long	3678532805                      ; 0xdb41f4c5
	.long	2616964783                      ; 0x9bfbb6af
	;; [unrolled: 1-line block ×5, first 2 shown]
	.long	480342712                       ; 0x1ca172b8
	.long	451634742                       ; 0x1aeb6636
	.long	3562778450                      ; 0xd45baf52
	.long	1943708078                      ; 0x73daa1ae
	;; [unrolled: 1-line block ×3, first 2 shown]
	.long	434714388                       ; 0x19e93714
	.long	2369278293                      ; 0x8d385155
	.long	2894425895                      ; 0xac856f27
	;; [unrolled: 1-line block ×3, first 2 shown]
	.long	317862862                       ; 0x12f233ce
	.long	551196237                       ; 0x20da964d
	.long	4193980239                      ; 0xf9fb0f4f
	.long	2952382875                      ; 0xaff9c99b
	;; [unrolled: 1-line block ×3, first 2 shown]
	.long	12728591                        ; 0xc2390f
	.long	2845888917                      ; 0xa9a0d195
	.long	1669184098                      ; 0x637dba62
	;; [unrolled: 1-line block ×16, first 2 shown]
	.long	422675402                       ; 0x193183ca
	.long	477894725                       ; 0x1c7c1845
	.long	3398641827                      ; 0xca9328a3
	.long	209352768                       ; 0xc7a7840
	.long	1354642198                      ; 0x50be3316
	.long	3029840461                      ; 0xb497b24d
	.long	35700837                        ; 0x220c065
	.long	2937170986                      ; 0xaf11ac2a
	.long	1660777984                      ; 0x62fd7600
	;; [unrolled: 1-line block ×3, first 2 shown]
	.long	587724229                       ; 0x2307f5c5
	.long	2051237478                      ; 0x7a436666
	.long	3539754304                      ; 0xd2fc5d40
	;; [unrolled: 1-line block ×4, first 2 shown]
	.long	144772179                       ; 0x8a10c53
	.long	353408424                       ; 0x151095a8
	.long	3493806256                      ; 0xd03f40b0
	.long	3616422021                      ; 0xd78e3885
	;; [unrolled: 1-line block ×3, first 2 shown]
	.long	228084488                       ; 0xd984b08
	.long	192277278                       ; 0xb75eb1e
	.long	3612092522                      ; 0xd74c286a
	.long	3638977910                      ; 0xd8e66576
	.long	467407503                       ; 0x1bdc128f
	.long	3391861572                      ; 0xca2bb344
	.long	847810786                       ; 0x328890e2
	.long	1838763654                      ; 0x6d994e86
	.long	2427237699                      ; 0x90acb543
	;; [unrolled: 1-line block ×9, first 2 shown]
	.long	714311566                       ; 0x2a93878e
	.long	1346246305                      ; 0x503e16a1
	.long	954101391                       ; 0x38de6e8f
	.long	2989587005                      ; 0xb2317a3d
	.long	3946819548                      ; 0xeb3fafdc
	;; [unrolled: 1-line block ×4, first 2 shown]
	.long	420941376                       ; 0x19170e40
	.long	952826829                       ; 0x38cafbcd
	.long	1118787884                      ; 0x42af592c
	.long	1884590246                      ; 0x705490a6
	.long	1007052798                      ; 0x3c0667fe
	.long	539759724                       ; 0x202c146c
	.long	1521451317                      ; 0x5aaf8135
	.long	2486654530                      ; 0x94375642
	.long	2761168910                      ; 0xa494180e
	;; [unrolled: 4-line block ×3, first 2 shown]
	.long	2621928183                      ; 0x9c4772f7
	.long	2855206157                      ; 0xaa2efd0d
	;; [unrolled: 1-line block ×9, first 2 shown]
	.long	255485979                       ; 0xf3a681b
	.long	3657534664                      ; 0xda018cc8
	.long	1317185871                      ; 0x4e82a94f
	.long	3004205219                      ; 0xb31088a3
	.long	4041610788                      ; 0xf0e61624
	.long	907575923                       ; 0x36188273
	.long	4132859581                      ; 0xf6566ebd
	.long	416269582                       ; 0x18cfc50e
	.long	2980178044                      ; 0xb1a1e87c
	.long	2338964683                      ; 0x8b69c4cb
	;; [unrolled: 1-line block ×3, first 2 shown]
	.long	992386759                       ; 0x3b269ec7
	.long	3971362318                      ; 0xecb62e0e
	.long	2573125018                      ; 0x995ec59a
	.long	579340117                       ; 0x22880755
	.long	1371742490                      ; 0x51c3211a
	.long	2033574313                      ; 0x7935e1a9
	;; [unrolled: 1-line block ×3, first 2 shown]
	.long	766585731                       ; 0x2db12b83
	.long	3090313228                      ; 0xb832700c
	.long	463522324                       ; 0x1ba0ca14
	.long	1482338913                      ; 0x585ab261
	.long	1816432405                      ; 0x6c448f15
	;; [unrolled: 1-line block ×4, first 2 shown]
	.long	171265751                       ; 0xa354ed7
	.long	2249118654                      ; 0x860ed3be
	.long	1153849045                      ; 0x44c656d5
	;; [unrolled: 1-line block ×6, first 2 shown]
	.long	623675874                       ; 0x252c89e2
	.long	2944231951                      ; 0xaf7d6a0f
	.long	3096087202                      ; 0xb88a8aa2
	;; [unrolled: 1-line block ×5, first 2 shown]
	.long	374714364                       ; 0x1655affc
	.long	2601862091                      ; 0x9b1543cb
	.long	1168357273                      ; 0x45a3b799
	.long	376788629                       ; 0x16755695
	.long	314507445                       ; 0x12bf00b5
	.long	1710922505                      ; 0x65fa9b09
	.long	1174181426                      ; 0x45fc9632
	;; [unrolled: 1-line block ×6, first 2 shown]
	.long	752017703                       ; 0x2cd2e127
	.long	1815095408                      ; 0x6c302870
	.long	939691799                       ; 0x38028f17
	.long	3080056566                      ; 0xb795eef6
	.long	1985366287                      ; 0x7656490f
	.long	126135654                       ; 0x784ad66
	.long	65327713                        ; 0x3e4d261
	.long	3884301346                      ; 0xe785bc22
	.long	2536445014                      ; 0x972f1456
	;; [unrolled: 1-line block ×3, first 2 shown]
	.long	955981361                       ; 0x38fb1e31
	.long	3678532805                      ; 0xdb41f4c5
	.long	2616964783                      ; 0x9bfbb6af
	.long	3168581019                      ; 0xbcdcb59b
	.long	2173417616                      ; 0x818bb890
	.long	3772187171                      ; 0xe0d70223
	.long	480342712                       ; 0x1ca172b8
	.long	451634742                       ; 0x1aeb6636
	.long	3562778450                      ; 0xd45baf52
	.long	236095606                       ; 0xe128876
	.long	1466950454                      ; 0x576fe336
	;; [unrolled: 2-line block ×3, first 2 shown]
	.long	2894425895                      ; 0xac856f27
	.long	1766257461                      ; 0x6946f335
	.long	317862862                       ; 0x12f233ce
	.long	551196237                       ; 0x20da964d
	.long	4193980239                      ; 0xf9fb0f4f
	.long	2952382875                      ; 0xaff9c99b
	;; [unrolled: 1-line block ×3, first 2 shown]
	.long	12728591                        ; 0xc2390f
	.long	2845888917                      ; 0xa9a0d195
	.long	1669184098                      ; 0x637dba62
	;; [unrolled: 1-line block ×8, first 2 shown]
	.long	942354812                       ; 0x382b317c
	.long	1005662613                      ; 0x3bf13195
	.long	3668152847                      ; 0xdaa3920f
	;; [unrolled: 1-line block ×7, first 2 shown]
	.long	422675402                       ; 0x193183ca
	.long	477894725                       ; 0x1c7c1845
	.long	2931444539                      ; 0xaeba4b3b
	.long	209352768                       ; 0xc7a7840
	.long	1354642198                      ; 0x50be3316
	.long	3029840461                      ; 0xb497b24d
	.long	35700837                        ; 0x220c065
	.long	3388567298                      ; 0xc9f96f02
	.long	1660777984                      ; 0x62fd7600
	;; [unrolled: 1-line block ×3, first 2 shown]
	.long	587724229                       ; 0x2307f5c5
	.long	2051237478                      ; 0x7a436666
	.long	1770178720                      ; 0x6982c8a0
	;; [unrolled: 1-line block ×4, first 2 shown]
	.long	144772179                       ; 0x8a10c53
	.long	353408424                       ; 0x151095a8
	.long	3783114255                      ; 0xe17dbe0f
	.long	3616422021                      ; 0xd78e3885
	;; [unrolled: 1-line block ×3, first 2 shown]
	.long	228084488                       ; 0xd984b08
	.long	192277278                       ; 0xb75eb1e
	;; [unrolled: 1-line block ×3, first 2 shown]
	.long	3638977910                      ; 0xd8e66576
	.long	467407503                       ; 0x1bdc128f
	.long	3391861572                      ; 0xca2bb344
	.long	847810786                       ; 0x328890e2
	.long	1413548572                      ; 0x54410a1c
	.long	2427237699                      ; 0x90acb543
	;; [unrolled: 1-line block ×9, first 2 shown]
	.long	714311566                       ; 0x2a93878e
	.long	1378213368                      ; 0x5225ddf8
	.long	954101391                       ; 0x38de6e8f
	.long	2989587005                      ; 0xb2317a3d
	.long	3946819548                      ; 0xeb3fafdc
	;; [unrolled: 1-line block ×4, first 2 shown]
	.long	420941376                       ; 0x19170e40
	.long	952826829                       ; 0x38cafbcd
	.long	1118787884                      ; 0x42af592c
	.long	1884590246                      ; 0x705490a6
	;; [unrolled: 1-line block ×3, first 2 shown]
	.long	539759724                       ; 0x202c146c
	.long	1521451317                      ; 0x5aaf8135
	.long	2486654530                      ; 0x94375642
	;; [unrolled: 1-line block ×8, first 2 shown]
	.long	916352763                       ; 0x369e6efb
	.long	3104695189                      ; 0xb90de395
	.long	3048269905                      ; 0xb5b0e851
	;; [unrolled: 1-line block ×4, first 2 shown]
	.long	369866139                       ; 0x160bb59b
	.long	3556473570                      ; 0xd3fb7ae2
	.long	1814057352                      ; 0x6c205188
	.long	255485979                       ; 0xf3a681b
	.long	3657534664                      ; 0xda018cc8
	.long	2916985473                      ; 0xadddaa81
	;; [unrolled: 1-line block ×4, first 2 shown]
	.long	907575923                       ; 0x36188273
	.long	4132859581                      ; 0xf6566ebd
	.long	3856599532                      ; 0xe5df09ec
	;; [unrolled: 1-line block ×5, first 2 shown]
	.long	992386759                       ; 0x3b269ec7
	.long	3393662326                      ; 0xca472d76
	.long	2573125018                      ; 0x995ec59a
	.long	579340117                       ; 0x22880755
	.long	1371742490                      ; 0x51c3211a
	.long	2033574313                      ; 0x7935e1a9
	;; [unrolled: 1-line block ×3, first 2 shown]
	.long	766585731                       ; 0x2db12b83
	.long	3090313228                      ; 0xb832700c
	.long	463522324                       ; 0x1ba0ca14
	.long	1482338913                      ; 0x585ab261
	.long	2122086302                      ; 0x7e7c779e
	;; [unrolled: 1-line block ×4, first 2 shown]
	.long	171265751                       ; 0xa354ed7
	.long	2249118654                      ; 0x860ed3be
	.long	952602228                       ; 0x38c78e74
	.long	2143267892                      ; 0x7fbfac34
	.long	2738647190                      ; 0xa33c7096
	;; [unrolled: 1-line block ×10, first 2 shown]
	.long	374714364                       ; 0x1655affc
	.long	2601862091                      ; 0x9b1543cb
	.long	1168357273                      ; 0x45a3b799
	.long	376788629                       ; 0x16755695
	.long	728738466                       ; 0x2b6faaa2
	.long	1710922505                      ; 0x65fa9b09
	.long	1174181426                      ; 0x45fc9632
	.long	2994990779                      ; 0xb283eebb
	.long	1035692306                      ; 0x3dbb6912
	.long	74930675                        ; 0x47759f3
	.long	3222680885                      ; 0xc0163535
	.long	752017703                       ; 0x2cd2e127
	.long	1815095408                      ; 0x6c302870
	.long	939691799                       ; 0x38028f17
	.long	3404352271                      ; 0xcaea4b0f
	.long	1985366287                      ; 0x7656490f
	.long	126135654                       ; 0x784ad66
	.long	65327713                        ; 0x3e4d261
	.long	3884301346                      ; 0xe785bc22
	.long	1822629733                      ; 0x6ca31f65
	;; [unrolled: 1-line block ×3, first 2 shown]
	.long	955981361                       ; 0x38fb1e31
	.long	3678532805                      ; 0xdb41f4c5
	.long	2616964783                      ; 0x9bfbb6af
	;; [unrolled: 1-line block ×5, first 2 shown]
	.long	480342712                       ; 0x1ca172b8
	.long	451634742                       ; 0x1aeb6636
	.long	1099609112                      ; 0x418ab418
	.long	236095606                       ; 0xe128876
	.long	1466950454                      ; 0x576fe336
	;; [unrolled: 2-line block ×3, first 2 shown]
	.long	2671873359                      ; 0x9f418d4f
	.long	1766257461                      ; 0x6946f335
	.long	317862862                       ; 0x12f233ce
	.long	551196237                       ; 0x20da964d
	.long	4193980239                      ; 0xf9fb0f4f
	.long	2006763654                      ; 0x779cc886
	;; [unrolled: 1-line block ×3, first 2 shown]
	.long	12728591                        ; 0xc2390f
	.long	2845888917                      ; 0xa9a0d195
	.long	1669184098                      ; 0x637dba62
	;; [unrolled: 1-line block ×8, first 2 shown]
	.long	942354812                       ; 0x382b317c
	.long	1005662613                      ; 0x3bf13195
	.long	3668152847                      ; 0xdaa3920f
	;; [unrolled: 1-line block ×7, first 2 shown]
	.long	422675402                       ; 0x193183ca
	.long	2291986911                      ; 0x889cf1df
	.long	2931444539                      ; 0xaeba4b3b
	.long	209352768                       ; 0xc7a7840
	.long	1354642198                      ; 0x50be3316
	.long	3029840461                      ; 0xb497b24d
	;; [unrolled: 1-line block ×6, first 2 shown]
	.long	587724229                       ; 0x2307f5c5
	.long	2759789003                      ; 0xa47f09cb
	.long	1770178720                      ; 0x6982c8a0
	;; [unrolled: 1-line block ×4, first 2 shown]
	.long	144772179                       ; 0x8a10c53
	.long	1572181309                      ; 0x5db5953d
	.long	3783114255                      ; 0xe17dbe0f
	;; [unrolled: 1-line block ×4, first 2 shown]
	.long	228084488                       ; 0xd984b08
	.long	4106643586                      ; 0xf4c66882
	.long	611095909                       ; 0x246c9565
	.long	3638977910                      ; 0xd8e66576
	;; [unrolled: 2-line block ×4, first 2 shown]
	.long	2427237699                      ; 0x90acb543
	.long	3018265496                      ; 0xb3e71398
	;; [unrolled: 1-line block ×3, first 2 shown]
	.long	692575565                       ; 0x2947dd4d
	.long	1487262638                      ; 0x58a5d3ae
	.long	2322365400                      ; 0x8a6c7bd8
	;; [unrolled: 1-line block ×6, first 2 shown]
	.long	954101391                       ; 0x38de6e8f
	.long	2989587005                      ; 0xb2317a3d
	.long	3946819548                      ; 0xeb3fafdc
	;; [unrolled: 1-line block ×4, first 2 shown]
	.long	359662140                       ; 0x1570023c
	.long	4058479705                      ; 0xf1e77c59
	.long	1306547382                      ; 0x4de054b6
	.long	514617018                       ; 0x1eac6eba
	.long	1685692791                      ; 0x6479a177
	.long	3370601554                      ; 0xc8e74c52
	;; [unrolled: 1-line block ×3, first 2 shown]
	.long	447798803                       ; 0x1ab0de13
	.long	3124262580                      ; 0xba3876b4
	.long	1841693810                      ; 0x6dc60472
	.long	583764638                       ; 0x22cb8a9e
	.long	853545489                       ; 0x32e01211
	.long	2614348705                      ; 0x9bd3cba1
	.long	1445696741                      ; 0x562b94e5
	;; [unrolled: 1-line block ×4, first 2 shown]
	.long	7404137                         ; 0x70fa69
	.long	3158806368                      ; 0xbc478f60
	.long	3487160245                      ; 0xcfd9d7b5
	.long	1410910965                      ; 0x5418caf5
	.long	3697116584                      ; 0xdc5d85a8
	.long	4272452035                      ; 0xfea871c3
	.long	832215403                       ; 0x319a996b
	.long	4190877996                      ; 0xf9cbb92c
	.long	2360539465                      ; 0x8cb2f949
	;; [unrolled: 1-line block ×3, first 2 shown]
	.long	546018244                       ; 0x208b93c4
	.long	613443074                       ; 0x24906602
	.long	2523894977                      ; 0x966f94c1
	.long	998991923                       ; 0x3b8b6833
	.long	2569220540                      ; 0x992331bc
	.long	4221264346                      ; 0xfb9b61da
	;; [unrolled: 1-line block ×4, first 2 shown]
	.long	261584257                       ; 0xf977581
	.long	4172552877                      ; 0xf8b41aad
	.long	1174774061                      ; 0x4605a12d
	;; [unrolled: 1-line block ×9, first 2 shown]
	.long	65447704                        ; 0x3e6a718
	.long	3962131218                      ; 0xec295312
	.long	839088053                       ; 0x320377b5
	.long	4154193716                      ; 0xf79bf734
	.long	1211888926                      ; 0x483bf51e
	.long	319402483                       ; 0x1309b1f3
	.long	3922826413                      ; 0xe9d194ad
	;; [unrolled: 3-line block ×3, first 2 shown]
	.long	1853729462                      ; 0x6e7daab6
	.long	2621029589                      ; 0x9c39bcd5
	.long	708558605                       ; 0x2a3bbf0d
	.long	1618007233                      ; 0x6070d4c1
	.long	2784732545                      ; 0xa5fba581
	.long	953859039                       ; 0x38dabbdf
	.long	921654620                       ; 0x36ef555c
	;; [unrolled: 1-line block ×3, first 2 shown]
	.long	3592256598                      ; 0xd61d7c56
	.long	2772318818                      ; 0xa53e3a62
	;; [unrolled: 1-line block ×13, first 2 shown]
	.long	243829114                       ; 0xe88897a
	.long	104328994                       ; 0x637ef22
	.long	3080249237                      ; 0xb798df95
	.long	2054985396                      ; 0x7a7c96b4
	.long	408961407                       ; 0x1860417f
	.long	2978652320                      ; 0xb18aa0a0
	.long	2412674552                      ; 0x8fce7df8
	;; [unrolled: 1-line block ×10, first 2 shown]
	.long	142666452                       ; 0x880ead4
	.long	531078813                       ; 0x1fa79e9d
	.long	1079142774                      ; 0x40526976
	.long	3437358350                      ; 0xcce1ed0e
	.long	635943961                       ; 0x25e7bc19
	.long	255576894                       ; 0xf3bcb3e
	.long	2991317718                      ; 0xb24be2d6
	.long	1208676456                      ; 0x480af068
	.long	247449774                       ; 0xebfc8ae
	.long	454879171                       ; 0x1b1ce7c3
	;; [unrolled: 1-line block ×3, first 2 shown]
	.long	3064123371                      ; 0xb6a2cfeb
	.long	336269028                       ; 0x140b0ee4
	.long	1137083842                      ; 0x43c685c2
	.long	959568850                       ; 0x3931dbd2
	.long	2508623991                      ; 0x95869077
	.long	3338418112                      ; 0xc6fc37c0
	;; [unrolled: 1-line block ×16, first 2 shown]
	.long	185143450                       ; 0xb09109a
	.long	889002925                       ; 0x34fd1bad
	.long	3999315013                      ; 0xee60b445
	.long	661455858                       ; 0x276d03f2
	.long	4026799358                      ; 0xf00414fe
	.long	3626504428                      ; 0xd82810ec
	;; [unrolled: 1-line block ×9, first 2 shown]
	.long	751400924                       ; 0x2cc977dc
	.long	2906720214                      ; 0xad4107d6
	.long	1210002606                      ; 0x481f2cae
	.long	916508568                       ; 0x36a0cf98
	.long	1728487600                      ; 0x6706a0b0
	.long	2478884914                      ; 0x93c0c832
	;; [unrolled: 1-line block ×5, first 2 shown]
	.long	701713417                       ; 0x29d34c09
	.long	512784398                       ; 0x1e90780e
	.long	1255240210                      ; 0x4ad17212
	.long	3665676113                      ; 0xda7dc751
	;; [unrolled: 1-line block ×6, first 2 shown]
	.long	369054145                       ; 0x15ff51c1
	.long	4011912082                      ; 0xef20eb92
	.long	748537647                       ; 0x2c9dc72f
	.long	1626721797                      ; 0x60f5ce05
	.long	852497405                       ; 0x32d013fd
	.long	168721778                       ; 0xa0e7d72
	.long	3091138383                      ; 0xb83f074f
	.long	3781228998                      ; 0xe160f9c6
	;; [unrolled: 1-line block ×3, first 2 shown]
	.long	838267218                       ; 0x31f6f152
	.long	2710632450                      ; 0xa190f802
	.long	690892139                       ; 0x292e2d6b
	.long	2484870604                      ; 0x941c1dcc
	.long	4151302318                      ; 0xf76fd8ae
	;; [unrolled: 1-line block ×3, first 2 shown]
	.long	727768263                       ; 0x2b60dcc7
	.long	1075391038                      ; 0x40192a3e
	.long	1842903369                      ; 0x6dd87949
	;; [unrolled: 1-line block ×9, first 2 shown]
	.long	920496809                       ; 0x36ddaaa9
	.long	1406803705                      ; 0x53da1ef9
	.long	3163880457                      ; 0xbc94fc09
	;; [unrolled: 1-line block ×5, first 2 shown]
	.long	147277542                       ; 0x8c746e6
	.long	803170440                       ; 0x2fdf6888
	;; [unrolled: 1-line block ×3, first 2 shown]
	.long	3897549272                      ; 0xe84fe1d8
	.long	151390608                       ; 0x9060990
	.long	951639139                       ; 0x38b8dc63
	;; [unrolled: 1-line block ×3, first 2 shown]
	.long	1106545578                      ; 0x41f48baa
	.long	1514893712                      ; 0x5a4b7190
	.long	998760135                       ; 0x3b87dec7
	.long	2557458623                      ; 0x986fb8bf
	.long	4109877399                      ; 0xf4f7c097
	.long	578824730                       ; 0x22802a1a
	.long	2174064027                      ; 0x8195959b
	.long	3352513900                      ; 0xc7d34d6c
	;; [unrolled: 1-line block ×3, first 2 shown]
	.long	911932439                       ; 0x365afc17
	.long	2030004973                      ; 0x78ff6aed
	.long	3283902592                      ; 0xc3bc6080
	;; [unrolled: 1-line block ×3, first 2 shown]
	.long	250434692                       ; 0xeed5484
	.long	352122318                       ; 0x14fcf5ce
	;; [unrolled: 1-line block ×4, first 2 shown]
	.long	2555395772                      ; 0x98503ebc
	.long	2307695537                      ; 0x898ca3b1
	;; [unrolled: 1-line block ×4, first 2 shown]
	.long	734614254                       ; 0x2bc952ee
	.long	3276420511                      ; 0xc34a359f
	.long	2636087597                      ; 0x9d1f812d
	;; [unrolled: 1-line block ×4, first 2 shown]
	.long	429736987                       ; 0x199d441b
	.long	3755125580                      ; 0xdfd2ab4c
	.long	1935957937                      ; 0x73645fb1
	.long	3300547146                      ; 0xc4ba5a4a
	.long	3089498232                      ; 0xb8260078
	.long	4167244256                      ; 0xf86319e0
	.long	1619189426                      ; 0x6082deb2
	.long	1094447351                      ; 0x413bf0f7
	.long	1061842570                      ; 0x3f4a6e8a
	.long	3666470174                      ; 0xda89e51e
	.long	810916769                       ; 0x30559ba1
	.long	2263633079                      ; 0x86ec4cb7
	.long	3863543843                      ; 0xe6490023
	;; [unrolled: 1-line block ×5, first 2 shown]
	.long	961498236                       ; 0x394f4c7c
	.long	1515309045                      ; 0x5a51c7f5
	.long	1564424234                      ; 0x5d3f382a
	;; [unrolled: 1-line block ×4, first 2 shown]
	.long	78621171                        ; 0x4afa9f3
	.long	3575132456                      ; 0xd5183128
	.long	2958793283                      ; 0xb05b9a43
	.long	387554009                       ; 0x17199ad9
	.long	688827573                       ; 0x290eacb5
	.long	3833764146                      ; 0xe4829932
	.long	2611524056                      ; 0x9ba8b1d8
	;; [unrolled: 1-line block ×13, first 2 shown]
	.long	12264437                        ; 0xbb23f5
	.long	1313835999                      ; 0x4e4f8bdf
	.long	556653278                       ; 0x212ddade
	.long	917105970                       ; 0x36a9ed32
	.long	1471530347                      ; 0x57b5c56b
	.long	2010243509                      ; 0x77d1e1b5
	;; [unrolled: 1-line block ×4, first 2 shown]
	.long	273352191                       ; 0x104b05ff
	.long	2505795417                      ; 0x955b6759
	.long	1336824946                      ; 0x4fae5472
	;; [unrolled: 1-line block ×7, first 2 shown]
	.long	713597958                       ; 0x2a88a406
	.long	4059691816                      ; 0xf1f9fb28
	.long	2812811116                      ; 0xa7a8176c
	;; [unrolled: 1-line block ×3, first 2 shown]
	.long	932688463                       ; 0x3797b24f
	.long	3001334051                      ; 0xb2e4b923
	.long	2028368589                      ; 0x78e672cd
	.long	830582457                       ; 0x3181aeb9
	.long	3964293916                      ; 0xec4a531c
	.long	4276849132                      ; 0xfeeb89ec
	;; [unrolled: 1-line block ×5, first 2 shown]
	.long	42517349                        ; 0x288c365
	.long	3100438883                      ; 0xb8ccf163
	.long	1137792178                      ; 0x43d154b2
	;; [unrolled: 1-line block ×3, first 2 shown]
	.long	463377892                       ; 0x1b9e95e4
	.long	3964913740                      ; 0xec53c84c
	.long	2422362185                      ; 0x90625049
	.long	436113863                       ; 0x19fe91c7
	.long	2044139049                      ; 0x79d71629
	.long	4197323265                      ; 0xfa2e1201
	;; [unrolled: 1-line block ×9, first 2 shown]
	.long	250035802                       ; 0xee73e5a
	.long	10186306                        ; 0x9b6e42
	.long	263338568                       ; 0xfb23a48
	.long	3899157617                      ; 0xe8686c71
	.long	3679157076                      ; 0xdb4b7b54
	;; [unrolled: 1-line block ×4, first 2 shown]
	.long	899008067                       ; 0x3595c643
	.long	3679828833                      ; 0xdb55bb61
	.long	711086272                       ; 0x2a6250c0
	.long	2952963707                      ; 0xb002a67b
	.long	3373894808                      ; 0xc9198c98
	.long	445540851                       ; 0x1a8e69f3
	.long	3405637490                      ; 0xcafde772
	.long	1343291195                      ; 0x5010ff3b
	.long	730888681                       ; 0x2b9079e9
	.long	507768703                       ; 0x1e43ef7f
	.long	3473963321                      ; 0xcf107939
	.long	1779803564                      ; 0x6a15a5ac
	;; [unrolled: 1-line block ×4, first 2 shown]
	.long	838267218                       ; 0x31f6f152
	.long	2710632450                      ; 0xa190f802
	.long	2431224659                      ; 0x90e98b53
	;; [unrolled: 1-line block ×5, first 2 shown]
	.long	727768263                       ; 0x2b60dcc7
	.long	4012573268                      ; 0xef2b0254
	.long	1842903369                      ; 0x6dd87949
	;; [unrolled: 1-line block ×9, first 2 shown]
	.long	920496809                       ; 0x36ddaaa9
	.long	400609988                       ; 0x17e0d2c4
	.long	3163880457                      ; 0xbc94fc09
	.long	1540551653                      ; 0x5bd2f3e5
	;; [unrolled: 1-line block ×5, first 2 shown]
	.long	803170440                       ; 0x2fdf6888
	.long	821275940                       ; 0x30f3ad24
	.long	3897549272                      ; 0xe84fe1d8
	.long	151390608                       ; 0x9060990
	.long	194431797                       ; 0xb96cb35
	;; [unrolled: 1-line block ×3, first 2 shown]
	.long	1106545578                      ; 0x41f48baa
	.long	1514893712                      ; 0x5a4b7190
	.long	998760135                       ; 0x3b87dec7
	.long	62528087                        ; 0x3ba1a57
	.long	4109877399                      ; 0xf4f7c097
	.long	578824730                       ; 0x22802a1a
	.long	2174064027                      ; 0x8195959b
	.long	3352513900                      ; 0xc7d34d6c
	;; [unrolled: 1-line block ×3, first 2 shown]
	.long	911932439                       ; 0x365afc17
	.long	2030004973                      ; 0x78ff6aed
	.long	3283902592                      ; 0xc3bc6080
	;; [unrolled: 1-line block ×4, first 2 shown]
	.long	352122318                       ; 0x14fcf5ce
	.long	977153640                       ; 0x3a3e2e68
	;; [unrolled: 1-line block ×3, first 2 shown]
	.long	2555395772                      ; 0x98503ebc
	.long	756528792                       ; 0x2d17b698
	.long	2593565626                      ; 0x9a96abba
	.long	3738143618                      ; 0xdecf8b82
	.long	734614254                       ; 0x2bc952ee
	.long	3276420511                      ; 0xc34a359f
	.long	4086313763                      ; 0xf3903323
	;; [unrolled: 1-line block ×4, first 2 shown]
	.long	429736987                       ; 0x199d441b
	.long	3755125580                      ; 0xdfd2ab4c
	.long	526056489                       ; 0x1f5afc29
	.long	3300547146                      ; 0xc4ba5a4a
	.long	3089498232                      ; 0xb8260078
	;; [unrolled: 1-line block ×4, first 2 shown]
	.long	82235109                        ; 0x4e6cee5
	.long	1061842570                      ; 0x3f4a6e8a
	.long	3666470174                      ; 0xda89e51e
	.long	810916769                       ; 0x30559ba1
	.long	2263633079                      ; 0x86ec4cb7
	.long	1110270726                      ; 0x422d6306
	;; [unrolled: 1-line block ×5, first 2 shown]
	.long	961498236                       ; 0x394f4c7c
	.long	1840197918                      ; 0x6daf311e
	.long	1564424234                      ; 0x5d3f382a
	;; [unrolled: 1-line block ×4, first 2 shown]
	.long	78621171                        ; 0x4afa9f3
	.long	3690913528                      ; 0xdbfedef8
	.long	2958793283                      ; 0xb05b9a43
	.long	387554009                       ; 0x17199ad9
	.long	688827573                       ; 0x290eacb5
	.long	3833764146                      ; 0xe4829932
	.long	3626285597                      ; 0xd824ba1d
	;; [unrolled: 1-line block ×11, first 2 shown]
	.long	63358970                        ; 0x3c6c7fa
	.long	1185831033                      ; 0x46ae5879
	.long	12264437                        ; 0xbb23f5
	.long	1313835999                      ; 0x4e4f8bdf
	.long	556653278                       ; 0x212ddade
	.long	3918754976                      ; 0xe99374a0
	.long	1471530347                      ; 0x57b5c56b
	.long	2010243509                      ; 0x77d1e1b5
	.long	3097827138                      ; 0xb8a51742
	.long	1399987735                      ; 0x53721e17
	.long	2767111911                      ; 0xa4eec6e7
	.long	2505795417                      ; 0x955b6759
	.long	1336824946                      ; 0x4fae5472
	.long	3358720963                      ; 0xc83203c3
	.long	2874295267                      ; 0xab5243e3
	.long	902314853                       ; 0x35c83b65
	.long	3478581038                      ; 0xcf56ef2e
	.long	4027859424                      ; 0xf01441e0
	.long	713597958                       ; 0x2a88a406
	.long	4059691816                      ; 0xf1f9fb28
	.long	1462989647                      ; 0x5733734f
	;; [unrolled: 1-line block ×3, first 2 shown]
	.long	932688463                       ; 0x3797b24f
	.long	3001334051                      ; 0xb2e4b923
	.long	2028368589                      ; 0x78e672cd
	;; [unrolled: 1-line block ×8, first 2 shown]
	.long	42517349                        ; 0x288c365
	.long	3100438883                      ; 0xb8ccf163
	.long	1137792178                      ; 0x43d154b2
	;; [unrolled: 1-line block ×3, first 2 shown]
	.long	140519541                       ; 0x8602875
	.long	3964913740                      ; 0xec53c84c
	.long	2422362185                      ; 0x90625049
	.long	436113863                       ; 0x19fe91c7
	.long	2044139049                      ; 0x79d71629
	.long	226785542                       ; 0xd847906
	.long	3275185975                      ; 0xc3375f37
	.long	2655265571                      ; 0x9e442323
	;; [unrolled: 1-line block ×4, first 2 shown]
	.long	46428973                        ; 0x2c4732d
	.long	1739051417                      ; 0x67a7d199
	.long	2393774399                      ; 0x8eae193f
	.long	250035802                       ; 0xee73e5a
	.long	10186306                        ; 0x9b6e42
	.long	4118320101                      ; 0xf57893e5
	.long	3899157617                      ; 0xe8686c71
	;; [unrolled: 1-line block ×7, first 2 shown]
	.long	711086272                       ; 0x2a6250c0
	.long	2952963707                      ; 0xb002a67b
	.long	3373894808                      ; 0xc9198c98
	;; [unrolled: 1-line block ×5, first 2 shown]
	.long	730888681                       ; 0x2b9079e9
	.long	507768703                       ; 0x1e43ef7f
	.long	2930510271                      ; 0xaeac09bf
	.long	1779803564                      ; 0x6a15a5ac
	;; [unrolled: 1-line block ×4, first 2 shown]
	.long	838267218                       ; 0x31f6f152
	.long	1817693489                      ; 0x6c57cd31
	.long	2431224659                      ; 0x90e98b53
	;; [unrolled: 1-line block ×15, first 2 shown]
	.long	241001958                       ; 0xe5d65e6
	.long	400609988                       ; 0x17e0d2c4
	.long	3163880457                      ; 0xbc94fc09
	.long	1540551653                      ; 0x5bd2f3e5
	;; [unrolled: 1-line block ×5, first 2 shown]
	.long	803170440                       ; 0x2fdf6888
	.long	821275940                       ; 0x30f3ad24
	.long	3897549272                      ; 0xe84fe1d8
	.long	1451986523                      ; 0x568b8e5b
	.long	194431797                       ; 0xb96cb35
	.long	904639695                       ; 0x35ebb4cf
	.long	1106545578                      ; 0x41f48baa
	.long	1514893712                      ; 0x5a4b7190
	;; [unrolled: 1-line block ×3, first 2 shown]
	.long	62528087                        ; 0x3ba1a57
	.long	4109877399                      ; 0xf4f7c097
	.long	578824730                       ; 0x22802a1a
	.long	2174064027                      ; 0x8195959b
	.long	461571251                       ; 0x1b8304b3
	;; [unrolled: 2-line block ×3, first 2 shown]
	.long	2030004973                      ; 0x78ff6aed
	.long	3283902592                      ; 0xc3bc6080
	;; [unrolled: 1-line block ×4, first 2 shown]
	.long	352122318                       ; 0x14fcf5ce
	.long	977153640                       ; 0x3a3e2e68
	;; [unrolled: 1-line block ×3, first 2 shown]
	.long	1019387737                      ; 0x3cc29f59
	.long	756528792                       ; 0x2d17b698
	.long	2593565626                      ; 0x9a96abba
	.long	3738143618                      ; 0xdecf8b82
	.long	734614254                       ; 0x2bc952ee
	.long	999431451                       ; 0x3b921d1b
	.long	4086313763                      ; 0xf3903323
	.long	4157371578                      ; 0xf7cc74ba
	;; [unrolled: 1-line block ×3, first 2 shown]
	.long	429736987                       ; 0x199d441b
	.long	140091634                       ; 0x859a0f2
	;; [unrolled: 1-line block ×3, first 2 shown]
	.long	3300547146                      ; 0xc4ba5a4a
	.long	3089498232                      ; 0xb8260078
	;; [unrolled: 1-line block ×4, first 2 shown]
	.long	82235109                        ; 0x4e6cee5
	.long	1061842570                      ; 0x3f4a6e8a
	.long	3666470174                      ; 0xda89e51e
	.long	810916769                       ; 0x30559ba1
	.long	3663992550                      ; 0xda6416e6
	.long	1110270726                      ; 0x422d6306
	;; [unrolled: 1-line block ×10, first 2 shown]
	.long	978199281                       ; 0x3a4e22f1
	.long	3690913528                      ; 0xdbfedef8
	.long	2958793283                      ; 0xb05b9a43
	.long	387554009                       ; 0x17199ad9
	.long	688827573                       ; 0x290eacb5
	;; [unrolled: 1-line block ×3, first 2 shown]
	.long	3626285597                      ; 0xd824ba1d
	.long	2296780370                      ; 0x88e61652
	;; [unrolled: 1-line block ×10, first 2 shown]
	.long	63358970                        ; 0x3c6c7fa
	.long	1185831033                      ; 0x46ae5879
	.long	12264437                        ; 0xbb23f5
	.long	1313835999                      ; 0x4e4f8bdf
	.long	3872277948                      ; 0xe6ce45bc
	;; [unrolled: 1-line block ×12, first 2 shown]
	.long	902314853                       ; 0x35c83b65
	.long	3478581038                      ; 0xcf56ef2e
	.long	4027859424                      ; 0xf01441e0
	.long	713597958                       ; 0x2a88a406
	.long	2198246306                      ; 0x830693a2
	.long	1462989647                      ; 0x5733734f
	;; [unrolled: 1-line block ×3, first 2 shown]
	.long	932688463                       ; 0x3797b24f
	.long	3001334051                      ; 0xb2e4b923
	.long	2374736511                      ; 0x8d8b9a7f
	;; [unrolled: 1-line block ×8, first 2 shown]
	.long	42517349                        ; 0x288c365
	.long	3100438883                      ; 0xb8ccf163
	.long	1137792178                      ; 0x43d154b2
	;; [unrolled: 1-line block ×3, first 2 shown]
	.long	140519541                       ; 0x8602875
	.long	3964913740                      ; 0xec53c84c
	.long	2422362185                      ; 0x90625049
	.long	436113863                       ; 0x19fe91c7
	.long	3460540392                      ; 0xce43a7e8
	.long	226785542                       ; 0xd847906
	.long	3275185975                      ; 0xc3375f37
	.long	2655265571                      ; 0x9e442323
	;; [unrolled: 1-line block ×4, first 2 shown]
	.long	46428973                        ; 0x2c4732d
	.long	1739051417                      ; 0x67a7d199
	.long	2393774399                      ; 0x8eae193f
	.long	250035802                       ; 0xee73e5a
	.long	1986226858                      ; 0x76636aaa
	.long	4118320101                      ; 0xf57893e5
	;; [unrolled: 1-line block ×5, first 2 shown]
	.long	551117761                       ; 0x20d963c1
	.long	4267866849                      ; 0xfe627ae1
	.long	3679828833                      ; 0xdb55bb61
	.long	711086272                       ; 0x2a6250c0
	.long	2952963707                      ; 0xb002a67b
	.long	1667866621                      ; 0x63699ffd
	;; [unrolled: 1-line block ×5, first 2 shown]
	.long	730888681                       ; 0x2b9079e9
	.long	2381246695                      ; 0x8deef0e7
	.long	2930510271                      ; 0xaeac09bf
	;; [unrolled: 1-line block ×21, first 2 shown]
	.long	241001958                       ; 0xe5d65e6
	.long	400609988                       ; 0x17e0d2c4
	.long	3163880457                      ; 0xbc94fc09
	.long	1540551653                      ; 0x5bd2f3e5
	;; [unrolled: 1-line block ×5, first 2 shown]
	.long	803170440                       ; 0x2fdf6888
	.long	821275940                       ; 0x30f3ad24
	.long	3485313735                      ; 0xcfbdaac7
	.long	1451986523                      ; 0x568b8e5b
	.long	194431797                       ; 0xb96cb35
	.long	904639695                       ; 0x35ebb4cf
	.long	1106545578                      ; 0x41f48baa
	.long	1633417190                      ; 0x615bf7e6
	;; [unrolled: 1-line block ×3, first 2 shown]
	.long	62528087                        ; 0x3ba1a57
	.long	4109877399                      ; 0xf4f7c097
	.long	578824730                       ; 0x22802a1a
	.long	3671726812                      ; 0xdada1adc
	.long	461571251                       ; 0x1b8304b3
	;; [unrolled: 2-line block ×3, first 2 shown]
	.long	2030004973                      ; 0x78ff6aed
	.long	2002341352                      ; 0x77594de8
	;; [unrolled: 1-line block ×4, first 2 shown]
	.long	352122318                       ; 0x14fcf5ce
	.long	977153640                       ; 0x3a3e2e68
	;; [unrolled: 1-line block ×3, first 2 shown]
	.long	1019387737                      ; 0x3cc29f59
	.long	756528792                       ; 0x2d17b698
	.long	2593565626                      ; 0x9a96abba
	.long	3738143618                      ; 0xdecf8b82
	.long	4160516213                      ; 0xf7fc7075
	.long	999431451                       ; 0x3b921d1b
	.long	4086313763                      ; 0xf3903323
	.long	4157371578                      ; 0xf7cc74ba
	;; [unrolled: 1-line block ×4, first 2 shown]
	.long	140091634                       ; 0x859a0f2
	.long	526056489                       ; 0x1f5afc29
	.long	3300547146                      ; 0xc4ba5a4a
	.long	3089498232                      ; 0xb8260078
	;; [unrolled: 1-line block ×4, first 2 shown]
	.long	82235109                        ; 0x4e6cee5
	.long	1061842570                      ; 0x3f4a6e8a
	.long	3666470174                      ; 0xda89e51e
	.long	945994616                       ; 0x3862bb78
	.long	3663992550                      ; 0xda6416e6
	.long	1110270726                      ; 0x422d6306
	;; [unrolled: 1-line block ×9, first 2 shown]
	.long	928117829                       ; 0x3751f445
	.long	978199281                       ; 0x3a4e22f1
	.long	3690913528                      ; 0xdbfedef8
	.long	2958793283                      ; 0xb05b9a43
	.long	387554009                       ; 0x17199ad9
	.long	2817496615                      ; 0xa7ef9627
	.long	375113876                       ; 0x165bc894
	.long	3626285597                      ; 0xd824ba1d
	.long	2296780370                      ; 0x88e61652
	;; [unrolled: 1-line block ×8, first 2 shown]
	.long	821902776                       ; 0x30fd3db8
	.long	1631078873                      ; 0x613849d9
	.long	63358970                        ; 0x3c6c7fa
	.long	1185831033                      ; 0x46ae5879
	.long	12264437                        ; 0xbb23f5
	.long	3192617499                      ; 0xbe4b7a1b
	.long	3872277948                      ; 0xe6ce45bc
	;; [unrolled: 1-line block ×12, first 2 shown]
	.long	902314853                       ; 0x35c83b65
	.long	3478581038                      ; 0xcf56ef2e
	.long	4027859424                      ; 0xf01441e0
	;; [unrolled: 1-line block ×6, first 2 shown]
	.long	932688463                       ; 0x3797b24f
	.long	4018333691                      ; 0xef82e7fb
	.long	2374736511                      ; 0x8d8b9a7f
	;; [unrolled: 1-line block ×8, first 2 shown]
	.long	42517349                        ; 0x288c365
	.long	3100438883                      ; 0xb8ccf163
	.long	1645455709                      ; 0x6213a95d
	.long	1146435746                      ; 0x445538a2
	.long	140519541                       ; 0x8602875
	.long	3964913740                      ; 0xec53c84c
	.long	2422362185                      ; 0x90625049
	;; [unrolled: 1-line block ×4, first 2 shown]
	.long	226785542                       ; 0xd847906
	.long	3275185975                      ; 0xc3375f37
	.long	2655265571                      ; 0x9e442323
	;; [unrolled: 1-line block ×4, first 2 shown]
	.long	46428973                        ; 0x2c4732d
	.long	1739051417                      ; 0x67a7d199
	.long	2393774399                      ; 0x8eae193f
	;; [unrolled: 1-line block ×8, first 2 shown]
	.long	551117761                       ; 0x20d963c1
	.long	4267866849                      ; 0xfe627ae1
	.long	3679828833                      ; 0xdb55bb61
	.long	711086272                       ; 0x2a6250c0
	.long	570153549                       ; 0x21fbda4d
	.long	1667866621                      ; 0x63699ffd
	.long	3662249794                      ; 0xda497f42
	;; [unrolled: 1-line block ×4, first 2 shown]
	.long	112368058                       ; 0x6b299ba
	.long	2615115584                      ; 0x9bdf7f40
	.long	2865130041                      ; 0xaac66a39
	.long	357584504                       ; 0x15504e78
	.long	528807633                       ; 0x1f84f6d1
	.long	1816055434                      ; 0x6c3ece8a
	.long	2854850066                      ; 0xaa298e12
	.long	190222907                       ; 0xb56923b
	.long	1014915859                      ; 0x3c7e6313
	.long	3472967123                      ; 0xcf0145d3
	;; [unrolled: 1-line block ×4, first 2 shown]
	.long	540430076                       ; 0x20364efc
	.long	2087143725                      ; 0x7c67492d
	.long	1571283916                      ; 0x5da7e3cc
	.long	1604766425                      ; 0x5fa6cad9
	.long	934199876                       ; 0x37aec244
	.long	3359569795                      ; 0xc83ef783
	.long	4168578472                      ; 0xf87775a8
	.long	1745876717                      ; 0x680ff6ed
	;; [unrolled: 4-line block ×3, first 2 shown]
	.long	2615245404                      ; 0x9be17a5c
	.long	2410035461                      ; 0x8fa63905
	;; [unrolled: 1-line block ×11, first 2 shown]
	.long	782363735                       ; 0x2ea1ec57
	.long	2242531852                      ; 0x85aa520c
	.long	4206829780                      ; 0xfabf20d4
	.long	1486885236                      ; 0x58a01174
	.long	3764707851                      ; 0xe064e20b
	.long	1945614253                      ; 0x73f7b7ad
	.long	1147926733                      ; 0x446bf8cd
	.long	701960774                       ; 0x29d71246
	.long	3435251514                      ; 0xccc1c73a
	.long	3626050187                      ; 0xd821228b
	.long	3587799538                      ; 0xd5d979f2
	.long	2399216643                      ; 0x8f012403
	.long	3217822006                      ; 0xbfcc1136
	.long	3600044386                      ; 0xd6945162
	;; [unrolled: 7-line block ×3, first 2 shown]
	.long	2284776380                      ; 0x882eebbc
	.long	2711956471                      ; 0xa1a52bf7
	;; [unrolled: 1-line block ×6, first 2 shown]
	.long	894405781                       ; 0x354f8c95
	.long	582621606                       ; 0x22ba19a6
	.long	1274260631                      ; 0x4bf3ac97
	.long	763432985                       ; 0x2d811019
	.long	1862236664                      ; 0x6eff79f8
	.long	10249416                        ; 0x9c64c8
	.long	3838574116                      ; 0xe4cbfe24
	.long	1912270458                      ; 0x71faee7a
	;; [unrolled: 1-line block ×4, first 2 shown]
	.long	312119069                       ; 0x129a8f1d
	.long	1812714569                      ; 0x6c0bd449
	.long	2729307370                      ; 0xa2adecea
	;; [unrolled: 1-line block ×3, first 2 shown]
	.long	303684944                       ; 0x1219dd50
	.long	503720764                       ; 0x1e062b3c
	.long	4029412414                      ; 0xf02bf43e
	.long	4101616421                      ; 0xf479b325
	.long	3484358948                      ; 0xcfaf1924
	.long	1261027935                      ; 0x4b29c25f
	.long	145713434                       ; 0x8af691a
	.long	2918444923                      ; 0xadf3ef7b
	.long	2099546237                      ; 0x7d24887d
	;; [unrolled: 1-line block ×23, first 2 shown]
	.long	644860154                       ; 0x266fc8fa
	.long	2465108160                      ; 0x92ee90c0
	.long	2358875673                      ; 0x8c999619
	;; [unrolled: 1-line block ×4, first 2 shown]
	.long	416443047                       ; 0x18d26aa7
	.long	3298583974                      ; 0xc49c65a6
	.long	1030877276                      ; 0x3d71f05c
	;; [unrolled: 1-line block ×13, first 2 shown]
	.long	54280556                        ; 0x33c416c
	.long	4169041146                      ; 0xf87e84fa
	.long	3130638398                      ; 0xba99c03e
	;; [unrolled: 1-line block ×4, first 2 shown]
	.long	916420843                       ; 0x369f78eb
	.long	938920758                       ; 0x37f6cb36
	.long	3425021599                      ; 0xcc25ae9f
	.long	1528477728                      ; 0x5b1ab820
	;; [unrolled: 1-line block ×4, first 2 shown]
	.long	936528538                       ; 0x37d24a9a
	.long	4174817780                      ; 0xf8d6a9f4
	.long	2541489033                      ; 0x977c0b89
	.long	3962368135                      ; 0xec2cf087
	.long	2054336507                      ; 0x7a72affb
	.long	2610093970                      ; 0x9b92df92
	.long	3613025255                      ; 0xd75a63e7
	.long	3583905994                      ; 0xd59e10ca
	.long	2990129491                      ; 0xb239c153
	.long	332823408                       ; 0x13d67b70
	.long	2505138276                      ; 0x95516064
	.long	3811707598                      ; 0xe3320ace
	.long	373987627                       ; 0x164a992b
	.long	4263703898                      ; 0xfe22f55a
	.long	1668946560                      ; 0x637a1a80
	;; [unrolled: 1-line block ×6, first 2 shown]
	.long	549232331                       ; 0x20bc9ecb
	.long	21447814                        ; 0x1474486
	.long	1647238011                      ; 0x622edb7b
	.long	3093799993                      ; 0xb867a439
	;; [unrolled: 1-line block ×7, first 2 shown]
	.long	856160888                       ; 0x3307fa78
	.long	2195536417                      ; 0x82dd3a21
	.long	3030463035                      ; 0xb4a1323b
	;; [unrolled: 1-line block ×3, first 2 shown]
	.long	896055051                       ; 0x3568b70b
	.long	1967105456                      ; 0x753fa5b0
	.long	2093562169                      ; 0x7cc93939
	;; [unrolled: 1-line block ×3, first 2 shown]
	.long	546374698                       ; 0x2091042a
	.long	1372591815                      ; 0x51d016c7
	.long	3773616637                      ; 0xe0ecd1fd
	.long	349073007                       ; 0x14ce6e6f
	.long	1331102855                      ; 0x4f570487
	.long	3035367896                      ; 0xb4ec09d8
	;; [unrolled: 1-line block ×4, first 2 shown]
	.long	74466398                        ; 0x470445e
	.long	1140488004                      ; 0x43fa7744
	.long	855606859                       ; 0x32ff864b
	.long	3803728487                      ; 0xe2b84a67
	.long	3589743162                      ; 0xd5f7223a
	;; [unrolled: 1-line block ×8, first 2 shown]
	.long	163276737                       ; 0x9bb67c1
	.long	1526772858                      ; 0x5b00b47a
	.long	3047139947                      ; 0xb59faa6b
	;; [unrolled: 1-line block ×5, first 2 shown]
	.long	305282258                       ; 0x12323cd2
	.long	2151108134                      ; 0x80374e26
	.long	2905708853                      ; 0xad319935
	;; [unrolled: 1-line block ×10, first 2 shown]
	.long	306284440                       ; 0x12418798
	.long	3245137245                      ; 0xc16cdd5d
	.long	3480776670                      ; 0xcf786fde
	;; [unrolled: 1-line block ×15, first 2 shown]
	.long	435047591                       ; 0x19ee4ca7
	.long	2999350446                      ; 0xb2c674ae
	.long	575044884                       ; 0x22467d14
	.long	1001339111                      ; 0x3baf38e7
	;; [unrolled: 2-line block ×3, first 2 shown]
	.long	2104489492                      ; 0x7d6ff614
	.long	2494528446                      ; 0x94af7bbe
	;; [unrolled: 1-line block ×8, first 2 shown]
	.long	87870515                        ; 0x53ccc33
	.long	958195816                       ; 0x391ce868
	.long	380666771                       ; 0x16b08393
	.long	3062272732                      ; 0xb68692dc
	.long	4178548642                      ; 0xf90f97a2
	;; [unrolled: 1-line block ×3, first 2 shown]
	.long	888566831                       ; 0x34f6742f
	.long	3386636024                      ; 0xc9dbf6f8
	.long	1636806704                      ; 0x618fb030
	;; [unrolled: 1-line block ×8, first 2 shown]
	.long	14436957                        ; 0xdc4a5d
	.long	913966574                       ; 0x367a05ee
	.long	1724553886                      ; 0x66ca9a9e
	.long	2015261135                      ; 0x781e71cf
	;; [unrolled: 1-line block ×4, first 2 shown]
	.long	110865735                       ; 0x69bad47
	.long	2913800286                      ; 0xadad105e
	.long	4131469475                      ; 0xf64138a3
	.long	315962755                       ; 0x12d53583
	.long	1531174227                      ; 0x5b43dd53
	.long	1226678476                      ; 0x491da0cc
	;; [unrolled: 1-line block ×4, first 2 shown]
	.long	539834883                       ; 0x202d3a03
	.long	2871306264                      ; 0xab24a818
	.long	3333932675                      ; 0xc6b7c683
	;; [unrolled: 1-line block ×4, first 2 shown]
	.long	464682640                       ; 0x1bb27e90
	.long	1786180352                      ; 0x6a76f300
	.long	162599143                       ; 0x9b110e7
	.long	817038005                       ; 0x30b302b5
	.long	3146256537                      ; 0xbb881099
	.long	1676400403                      ; 0x63ebd713
	;; [unrolled: 1-line block ×3, first 2 shown]
	.long	702610427                       ; 0x29e0fbfb
	.long	4005124049                      ; 0xeeb957d1
	.long	1691076958                      ; 0x64cbc95e
	;; [unrolled: 1-line block ×12, first 2 shown]
	.long	968269281                       ; 0x39b69de1
	.long	2630991382                      ; 0x9cd1be16
	.long	2716444139                      ; 0xa1e9a5eb
	;; [unrolled: 1-line block ×5, first 2 shown]
	.long	843840414                       ; 0x324bfb9e
	.long	1277966236                      ; 0x4c2c379c
	.long	4141095880                      ; 0xf6d41bc8
	.long	715016637                       ; 0x2a9e49bd
	.long	1255888181                      ; 0x4adb5535
	.long	1321941951                      ; 0x4ecb3bbf
	;; [unrolled: 1-line block ×9, first 2 shown]
	.long	974431991                       ; 0x3a14a6f7
	.long	347200257                       ; 0x14b1db01
	;; [unrolled: 1-line block ×3, first 2 shown]
	.long	2275848777                      ; 0x87a6b249
	.long	3732452739                      ; 0xde78b583
	;; [unrolled: 1-line block ×5, first 2 shown]
	.long	99605353                        ; 0x5efdb69
	.long	2387945286                      ; 0x8e552746
	.long	4224788259                      ; 0xfbd12723
	;; [unrolled: 1-line block ×5, first 2 shown]
	.long	238715294                       ; 0xe3a819e
	.long	2195536417                      ; 0x82dd3a21
	.long	3030463035                      ; 0xb4a1323b
	;; [unrolled: 1-line block ×3, first 2 shown]
	.long	896055051                       ; 0x3568b70b
	.long	3061240402                      ; 0xb676d252
	.long	2093562169                      ; 0x7cc93939
	;; [unrolled: 1-line block ×3, first 2 shown]
	.long	546374698                       ; 0x2091042a
	.long	1372591815                      ; 0x51d016c7
	.long	851057115                       ; 0x32ba19db
	.long	349073007                       ; 0x14ce6e6f
	.long	1331102855                      ; 0x4f570487
	.long	3035367896                      ; 0xb4ec09d8
	.long	1222622311                      ; 0x48dfbc67
	.long	3305595574                      ; 0xc50762b6
	.long	74466398                        ; 0x470445e
	.long	1140488004                      ; 0x43fa7744
	.long	855606859                       ; 0x32ff864b
	.long	3803728487                      ; 0xe2b84a67
	.long	3838112757                      ; 0xe4c4f3f5
	;; [unrolled: 1-line block ×8, first 2 shown]
	.long	163276737                       ; 0x9bb67c1
	.long	1526772858                      ; 0x5b00b47a
	.long	3047139947                      ; 0xb59faa6b
	.long	3518918891                      ; 0xd1be70eb
	.long	2583795468                      ; 0x9a01970c
	.long	3628272447                      ; 0xd8430b3f
	.long	305282258                       ; 0x12323cd2
	.long	2151108134                      ; 0x80374e26
	.long	3555155951                      ; 0xd3e75fef
	.long	1052800761                      ; 0x3ec076f9
	.long	3354632338                      ; 0xc7f3a092
	.long	1017036861                      ; 0x3c9ec03d
	.long	2453680791                      ; 0x92403297
	.long	2394691836                      ; 0x8ebc18fc
	.long	1622154585                      ; 0x60b01d59
	.long	2893733051                      ; 0xac7adcbb
	.long	3888482522                      ; 0xe7c588da
	.long	306284440                       ; 0x12418798
	.long	2055552069                      ; 0x7a853c45
	.long	3480776670                      ; 0xcf786fde
	.long	2865396581                      ; 0xaaca7b65
	.long	3571456526                      ; 0xd4e01a0e
	.long	3284891766                      ; 0xc3cb7876
	;; [unrolled: 11-line block ×3, first 2 shown]
	.long	2999350446                      ; 0xb2c674ae
	.long	575044884                       ; 0x22467d14
	.long	1001339111                      ; 0x3baf38e7
	.long	625824120                       ; 0x254d5178
	.long	576119652                       ; 0x2256e364
	.long	2104489492                      ; 0x7d6ff614
	.long	2494528446                      ; 0x94af7bbe
	;; [unrolled: 1-line block ×4, first 2 shown]
	.long	786660788                       ; 0x2ee37db4
	.long	2438694106                      ; 0x915b84da
	.long	1443850072                      ; 0x560f6758
	;; [unrolled: 1-line block ×3, first 2 shown]
	.long	87870515                        ; 0x53ccc33
	.long	457955380                       ; 0x1b4bd834
	.long	380666771                       ; 0x16b08393
	.long	3062272732                      ; 0xb68692dc
	.long	4178548642                      ; 0xf90f97a2
	;; [unrolled: 1-line block ×12, first 2 shown]
	.long	14436957                        ; 0xdc4a5d
	.long	530062778                       ; 0x1f981dba
	.long	1724553886                      ; 0x66ca9a9e
	.long	2015261135                      ; 0x781e71cf
	;; [unrolled: 1-line block ×7, first 2 shown]
	.long	315962755                       ; 0x12d53583
	.long	1531174227                      ; 0x5b43dd53
	.long	2433363617                      ; 0x910a2ea1
	;; [unrolled: 1-line block ×4, first 2 shown]
	.long	539834883                       ; 0x202d3a03
	.long	2871306264                      ; 0xab24a818
	.long	2597546929                      ; 0x9ad36bb1
	;; [unrolled: 1-line block ×4, first 2 shown]
	.long	464682640                       ; 0x1bb27e90
	.long	1786180352                      ; 0x6a76f300
	.long	1165821797                      ; 0x457d0765
	.long	817038005                       ; 0x30b302b5
	.long	3146256537                      ; 0xbb881099
	.long	1676400403                      ; 0x63ebd713
	;; [unrolled: 1-line block ×16, first 2 shown]
	.long	968269281                       ; 0x39b69de1
	.long	2630991382                      ; 0x9cd1be16
	.long	4103280359                      ; 0xf49316e7
	;; [unrolled: 1-line block ×5, first 2 shown]
	.long	843840414                       ; 0x324bfb9e
	.long	1340474980                      ; 0x4fe60664
	.long	4141095880                      ; 0xf6d41bc8
	.long	715016637                       ; 0x2a9e49bd
	.long	1255888181                      ; 0x4adb5535
	.long	1321941951                      ; 0x4ecb3bbf
	.long	2512565938                      ; 0x95c2b6b2
	.long	1021629824                      ; 0x3ce4d580
	.long	3395369301                      ; 0xca613955
	.long	3912221525                      ; 0xe92fc355
	.long	2611782663                      ; 0x9baca407
	.long	2287272047                      ; 0x8855006f
	.long	2253029302                      ; 0x864a7fb6
	.long	974431991                       ; 0x3a14a6f7
	.long	347200257                       ; 0x14b1db01
	;; [unrolled: 1-line block ×3, first 2 shown]
	.long	3775715445                      ; 0xe10cd875
	.long	3732452739                      ; 0xde78b583
	;; [unrolled: 1-line block ×10, first 2 shown]
	.long	879682447                       ; 0x346ee38f
	.long	238715294                       ; 0xe3a819e
	.long	2195536417                      ; 0x82dd3a21
	.long	3030463035                      ; 0xb4a1323b
	;; [unrolled: 1-line block ×7, first 2 shown]
	.long	546374698                       ; 0x2091042a
	.long	1928060945                      ; 0x72ebe011
	.long	851057115                       ; 0x32ba19db
	.long	349073007                       ; 0x14ce6e6f
	.long	1331102855                      ; 0x4f570487
	.long	3035367896                      ; 0xb4ec09d8
	;; [unrolled: 1-line block ×4, first 2 shown]
	.long	74466398                        ; 0x470445e
	.long	1140488004                      ; 0x43fa7744
	.long	855606859                       ; 0x32ff864b
	.long	917923571                       ; 0x36b666f3
	.long	3838112757                      ; 0xe4c4f3f5
	.long	2748402856                      ; 0xa3d14ca8
	;; [unrolled: 1-line block ×4, first 2 shown]
	.long	995791756                       ; 0x3b5a938c
	.long	1038286760                      ; 0x3de2ffa8
	.long	2013737074                      ; 0x78073072
	.long	163276737                       ; 0x9bb67c1
	.long	1526772858                      ; 0x5b00b47a
	.long	1944370085                      ; 0x73e4bba5
	;; [unrolled: 1-line block ×5, first 2 shown]
	.long	305282258                       ; 0x12323cd2
	.long	685261037                       ; 0x28d840ed
	.long	3555155951                      ; 0xd3e75fef
	.long	1052800761                      ; 0x3ec076f9
	.long	3354632338                      ; 0xc7f3a092
	.long	1017036861                      ; 0x3c9ec03d
	.long	1620076466                      ; 0x609067b2
	.long	2394691836                      ; 0x8ebc18fc
	.long	1622154585                      ; 0x60b01d59
	.long	2893733051                      ; 0xac7adcbb
	.long	3888482522                      ; 0xe7c588da
	.long	4119309151                      ; 0xf587ab5f
	.long	2055552069                      ; 0x7a853c45
	.long	3480776670                      ; 0xcf786fde
	.long	2865396581                      ; 0xaaca7b65
	.long	3571456526                      ; 0xd4e01a0e
	.long	4008552940                      ; 0xeeeda9ec
	.long	1179339312                      ; 0x464b4a30
	.long	1057867320                      ; 0x3f0dc638
	.long	2888126310                      ; 0xac254f66
	.long	3302325443                      ; 0xc4d57cc3
	.long	2359989247                      ; 0x8caa93ff
	.long	683364318                       ; 0x28bb4fde
	.long	1615533805                      ; 0x604b16ed
	.long	1438727397                      ; 0x55c13ce5
	;; [unrolled: 1-line block ×6, first 2 shown]
	.long	575044884                       ; 0x22467d14
	.long	1001339111                      ; 0x3baf38e7
	.long	2406217399                      ; 0x8f6bf6b7
	.long	576119652                       ; 0x2256e364
	.long	2104489492                      ; 0x7d6ff614
	.long	2494528446                      ; 0x94af7bbe
	;; [unrolled: 1-line block ×4, first 2 shown]
	.long	786660788                       ; 0x2ee37db4
	.long	2438694106                      ; 0x915b84da
	.long	1443850072                      ; 0x560f6758
	;; [unrolled: 1-line block ×4, first 2 shown]
	.long	457955380                       ; 0x1b4bd834
	.long	380666771                       ; 0x16b08393
	.long	3062272732                      ; 0xb68692dc
	.long	4178548642                      ; 0xf90f97a2
	;; [unrolled: 1-line block ×13, first 2 shown]
	.long	530062778                       ; 0x1f981dba
	.long	1724553886                      ; 0x66ca9a9e
	.long	2015261135                      ; 0x781e71cf
	;; [unrolled: 1-line block ×7, first 2 shown]
	.long	315962755                       ; 0x12d53583
	.long	2891870900                      ; 0xac5e72b4
	.long	2433363617                      ; 0x910a2ea1
	;; [unrolled: 1-line block ×4, first 2 shown]
	.long	539834883                       ; 0x202d3a03
	.long	1390877376                      ; 0x52e71ac0
	.long	2597546929                      ; 0x9ad36bb1
	;; [unrolled: 1-line block ×4, first 2 shown]
	.long	464682640                       ; 0x1bb27e90
	.long	1405678725                      ; 0x53c8f485
	.long	1165821797                      ; 0x457d0765
	.long	817038005                       ; 0x30b302b5
	.long	3146256537                      ; 0xbb881099
	.long	1676400403                      ; 0x63ebd713
	.long	9522151                         ; 0x914be7
	.long	3239493343                      ; 0xc116bedf
	.long	4005124049                      ; 0xeeb957d1
	;; [unrolled: 1-line block ×13, first 2 shown]
	.long	968269281                       ; 0x39b69de1
	.long	2669129178                      ; 0x9f17adda
	.long	4103280359                      ; 0xf49316e7
	;; [unrolled: 1-line block ×8, first 2 shown]
	.long	715016637                       ; 0x2a9e49bd
	.long	1255888181                      ; 0x4adb5535
	.long	1290704077                      ; 0x4cee94cd
	;; [unrolled: 1-line block ×6, first 2 shown]
	.long	767420943                       ; 0x2dbdea0f
	.long	2287272047                      ; 0x8855006f
	.long	2253029302                      ; 0x864a7fb6
	.long	974431991                       ; 0x3a14a6f7
	.long	347200257                       ; 0x14b1db01
	;; [unrolled: 1-line block ×3, first 2 shown]
	.long	3775715445                      ; 0xe10cd875
	.long	3732452739                      ; 0xde78b583
	;; [unrolled: 1-line block ×10, first 2 shown]
	.long	879682447                       ; 0x346ee38f
	.long	238715294                       ; 0xe3a819e
	.long	2195536417                      ; 0x82dd3a21
	.long	3030463035                      ; 0xb4a1323b
	.long	774839173                       ; 0x2e2f1b85
	.long	3975397430                      ; 0xecf3c036
	.long	3061240402                      ; 0xb676d252
	;; [unrolled: 1-line block ×4, first 2 shown]
	.long	77503099                        ; 0x49e9a7b
	.long	1928060945                      ; 0x72ebe011
	.long	851057115                       ; 0x32ba19db
	.long	349073007                       ; 0x14ce6e6f
	.long	1331102855                      ; 0x4f570487
	.long	4216140027                      ; 0xfb4d30fb
	;; [unrolled: 1-line block ×4, first 2 shown]
	.long	74466398                        ; 0x470445e
	.long	1140488004                      ; 0x43fa7744
	.long	1728766104                      ; 0x670ae098
	.long	917923571                       ; 0x36b666f3
	.long	3838112757                      ; 0xe4c4f3f5
	.long	2748402856                      ; 0xa3d14ca8
	;; [unrolled: 1-line block ×4, first 2 shown]
	.long	995791756                       ; 0x3b5a938c
	.long	1038286760                      ; 0x3de2ffa8
	.long	2013737074                      ; 0x78073072
	.long	163276737                       ; 0x9bb67c1
	.long	936142172                       ; 0x37cc655c
	.long	1944370085                      ; 0x73e4bba5
	.long	3518918891                      ; 0xd1be70eb
	;; [unrolled: 1-line block ×5, first 2 shown]
	.long	685261037                       ; 0x28d840ed
	.long	3555155951                      ; 0xd3e75fef
	.long	1052800761                      ; 0x3ec076f9
	;; [unrolled: 1-line block ×20, first 2 shown]
	.long	683364318                       ; 0x28bb4fde
	.long	1615533805                      ; 0x604b16ed
	.long	1438727397                      ; 0x55c13ce5
	;; [unrolled: 1-line block ×6, first 2 shown]
	.long	575044884                       ; 0x22467d14
	.long	2712063736                      ; 0xa1a6cef8
	.long	2406217399                      ; 0x8f6bf6b7
	.long	576119652                       ; 0x2256e364
	.long	2104489492                      ; 0x7d6ff614
	.long	2494528446                      ; 0x94af7bbe
	;; [unrolled: 1-line block ×4, first 2 shown]
	.long	786660788                       ; 0x2ee37db4
	.long	2438694106                      ; 0x915b84da
	.long	1443850072                      ; 0x560f6758
	;; [unrolled: 1-line block ×4, first 2 shown]
	.long	457955380                       ; 0x1b4bd834
	.long	380666771                       ; 0x16b08393
	.long	3062272732                      ; 0xb68692dc
	.long	2387056252                      ; 0x8e47967c
	.long	1354877973                      ; 0x50c1cc15
	.long	2256710588                      ; 0x8682abbc
	.long	3386636024                      ; 0xc9dbf6f8
	.long	1636806704                      ; 0x618fb030
	.long	517188972                       ; 0x1ed3ad6c
	.long	2275777233                      ; 0x87a59ad1
	.long	3733049985                      ; 0xde81d281
	.long	3278772216                      ; 0xc36e17f8
	.long	1562778171                      ; 0x5d261a3b
	.long	3436331606                      ; 0xccd24256
	.long	3438624166                      ; 0xccf53da6
	;; [unrolled: 7-line block ×3, first 2 shown]
	.long	4131469475                      ; 0xf64138a3
	.long	878455086                       ; 0x345c292e
	.long	2891870900                      ; 0xac5e72b4
	.long	2433363617                      ; 0x910a2ea1
	;; [unrolled: 1-line block ×9, first 2 shown]
	.long	719826541                       ; 0x2ae7ae6d
	.long	1405678725                      ; 0x53c8f485
	.long	1165821797                      ; 0x457d0765
	.long	817038005                       ; 0x30b302b5
	.long	3146256537                      ; 0xbb881099
	.long	3883590627                      ; 0xe77ae3e3
	.long	9522151                         ; 0x914be7
	.long	3239493343                      ; 0xc116bedf
	.long	4005124049                      ; 0xeeb957d1
	;; [unrolled: 1-line block ×3, first 2 shown]
	.long	893183073                       ; 0x353ce461
	.long	4076978821                      ; 0xf301c285
	.long	2088690204                      ; 0x7c7ee21c
	;; [unrolled: 1-line block ×18, first 2 shown]
	.long	715016637                       ; 0x2a9e49bd
	.long	1705234794                      ; 0x65a3d16a
	.long	1290704077                      ; 0x4cee94cd
	;; [unrolled: 1-line block ×6, first 2 shown]
	.long	767420943                       ; 0x2dbdea0f
	.long	2287272047                      ; 0x8855006f
	.long	2253029302                      ; 0x864a7fb6
	.long	974431991                       ; 0x3a14a6f7
	.long	3060035390                      ; 0xb6646f3e
	.long	940587649                       ; 0x38103a81
	.long	3775715445                      ; 0xe10cd875
	.long	3732452739                      ; 0xde78b583
	;; [unrolled: 1-line block ×5, first 2 shown]
	.long	340420813                       ; 0x144a68cd
	.long	2539294182                      ; 0x975a8de6
	.long	2619616318                      ; 0x9c242c3e
	.long	456806966                       ; 0x1b3a5236
	.long	4272538790                      ; 0xfea9c4a6
	.long	2994564124                      ; 0xb27d6c1c
	;; [unrolled: 1-line block ×8, first 2 shown]
	.long	273195440                       ; 0x1048a1b0
	.long	3579761455                      ; 0xd55ed32f
	.long	862317458                       ; 0x3365eb92
	.long	1894959361                      ; 0x70f2c901
	.long	42596779                        ; 0x289f9ab
	.long	376641729                       ; 0x167318c1
	.long	782820755                       ; 0x2ea8e593
	;; [unrolled: 1-line block ×4, first 2 shown]
	.long	4038035195                      ; 0xf0af86fb
	.long	311038326                       ; 0x128a1176
	.long	395780597                       ; 0x179721f5
	.long	2025474869                      ; 0x78ba4b35
	.long	404396572                       ; 0x181a9a1c
	.long	4138962756                      ; 0xf6b38f44
	.long	2441107014                      ; 0x91805646
	.long	3525378401                      ; 0xd2210161
	.long	947085768                       ; 0x387361c8
	.long	3758218091                      ; 0xe001db6b
	.long	3185789607                      ; 0xbde34aa7
	.long	638283508                       ; 0x260b6ef4
	.long	3802505926                      ; 0xe2a5a2c6
	.long	830259842                       ; 0x317cc282
	.long	1086400881                      ; 0x40c12971
	.long	3444485                         ; 0x348f05
	.long	142418107                       ; 0x87d20bb
	.long	4283468141                      ; 0xff50896d
	.long	1669846189                      ; 0x6387d4ad
	.long	955065888                       ; 0x38ed2620
	.long	3864384467                      ; 0xe655d3d3
	.long	73139517                        ; 0x45c053d
	.long	136809048                       ; 0x8278a58
	.long	1444329434                      ; 0x5616b7da
	.long	174974637                       ; 0xa6de6ad
	.long	3303183786                      ; 0xc4e295aa
	;; [unrolled: 2-line block ×3, first 2 shown]
	.long	3811060015                      ; 0xe328292f
	.long	1610640996                      ; 0x60006e64
	.long	3824096289                      ; 0xe3ef1421
	.long	1123437514                      ; 0x42f64bca
	.long	3826582808                      ; 0xe4150518
	.long	39407702                        ; 0x2595056
	.long	2437666463                      ; 0x914bd69f
	.long	2454206642                      ; 0x924838b2
	.long	830758422                       ; 0x31845e16
	.long	4190092654                      ; 0xf9bfbd6e
	.long	1941090912                      ; 0x73b2b260
	.long	224373276                       ; 0xd5faa1c
	.long	3704201239                      ; 0xdcc9a017
	.long	3284012568                      ; 0xc3be0e18
	.long	4056152539                      ; 0xf1c3f9db
	.long	1022047941                      ; 0x3ceb36c5
	.long	1077111803                      ; 0x40336bfb
	.long	3028336675                      ; 0xb480c023
	.long	3207391465                      ; 0xbf2ce8e9
	.long	3459202233                      ; 0xce2f3cb9
	.long	1991240724                      ; 0x76afec14
	.long	4184491520                      ; 0xf96a4600
	.long	1851863093                      ; 0x6e613035
	.long	1038639595                      ; 0x3de861eb
	.long	1392247730                      ; 0x52fc03b2
	.long	2113875749                      ; 0x7dff2f25
	.long	1162388509                      ; 0x4548a41d
	.long	2629935260                      ; 0x9cc1a09c
	.long	3545260772                      ; 0xd35062e4
	.long	991928712                       ; 0x3b1fa188
	.long	4064775043                      ; 0xf2478b83
	.long	4180493781                      ; 0xf92d45d5
	;; [unrolled: 1-line block ×3, first 2 shown]
	.long	642853690                       ; 0x26512b3a
	.long	290065503                       ; 0x114a0c5f
	.long	1629968                         ; 0x18df10
	.long	3150373868                      ; 0xbbc6e3ec
	.long	3110755428                      ; 0xb96a5c64
	;; [unrolled: 1-line block ×3, first 2 shown]
	.long	421928533                       ; 0x19261e55
	.long	11426979                        ; 0xae5ca3
	.long	3042809169                      ; 0xb55d9551
	.long	786868170                       ; 0x2ee6a7ca
	.long	1287942583                      ; 0x4cc471b7
	.long	1851107769                      ; 0x6e55a9b9
	;; [unrolled: 1-line block ×6, first 2 shown]
	.long	505924220                       ; 0x1e27ca7c
	.long	2944131627                      ; 0xaf7be22b
	.long	2639930627                      ; 0x9d5a2503
	;; [unrolled: 1-line block ×8, first 2 shown]
	.long	997824216                       ; 0x3b7996d8
	.long	123465626                       ; 0x75bef9a
	;; [unrolled: 1-line block ×3, first 2 shown]
	.long	1161486362                      ; 0x453ae01a
	.long	2706162053                      ; 0xa14cc185
	;; [unrolled: 1-line block ×5, first 2 shown]
	.long	909648429                       ; 0x3638222d
	.long	298619078                       ; 0x11cc90c6
	.long	2057042454                      ; 0x7a9bfa16
	.long	3613272637                      ; 0xd75e2a3d
	;; [unrolled: 1-line block ×5, first 2 shown]
	.long	58508710                        ; 0x37cc5a6
	.long	1079418100                      ; 0x40569cf4
	.long	3278870121                      ; 0xc36f9669
	;; [unrolled: 1-line block ×3, first 2 shown]
	.long	16654909                        ; 0xfe223d
	.long	2530580589                      ; 0x96d5986d
	.long	3361874982                      ; 0xc8622426
	.long	629910009                       ; 0x258ba9f9
	.long	2124761646                      ; 0x7ea54a2e
	.long	2508133604                      ; 0x957f14e4
	;; [unrolled: 1-line block ×4, first 2 shown]
	.long	141617625                       ; 0x870e9d9
	.long	1653192078                      ; 0x6289b58e
	.long	1541695589                      ; 0x5be46865
	;; [unrolled: 1-line block ×11, first 2 shown]
	.long	176823785                       ; 0xa8a1de9
	.long	913229929                       ; 0x366ec869
	;; [unrolled: 1-line block ×3, first 2 shown]
	.long	2256486297                      ; 0x867f3f99
	.long	2881672598                      ; 0xabc2d596
	.long	597153273                       ; 0x2397d5f9
	.long	2782767695                      ; 0xa5ddaa4f
	.long	1133158067                      ; 0x438a9eb3
	;; [unrolled: 1-line block ×4, first 2 shown]
	.long	754062201                       ; 0x2cf21379
	.long	4069172986                      ; 0xf28aa6fa
	.long	2441935114                      ; 0x918cf90a
	.long	3465447683                      ; 0xce8e8903
	.long	2897229686                      ; 0xacb03776
	.long	3845380309                      ; 0xe533d8d5
	.long	1199633364                      ; 0x4780f3d4
	.long	495424232                       ; 0x1d8792e8
	.long	2490548037                      ; 0x9472bf45
	.long	581670528                       ; 0x22ab9680
	.long	2467171733                      ; 0x930e0d95
	.long	2200094863                      ; 0x8322c88f
	;; [unrolled: 1-line block ×9, first 2 shown]
	.long	349440478                       ; 0x14d409de
	.long	3920932491                      ; 0xe9b4ae8b
	.long	2462464051                      ; 0x92c63833
	.long	1075951496                      ; 0x4021b788
	.long	2835763703                      ; 0xa90651f7
	.long	1593198055                      ; 0x5ef645e7
	.long	2380945625                      ; 0x8dea58d9
	.long	543531323                       ; 0x2065a13b
	.long	3182766507                      ; 0xbdb529ab
	.long	2927484354                      ; 0xae7dddc2
	.long	2877470578                      ; 0xab82b772
	.long	4153923603                      ; 0xf797d813
	.long	2443156156                      ; 0x919f9abc
	.long	1168544900                      ; 0x45a69484
	;; [unrolled: 7-line block ×3, first 2 shown]
	.long	1095584023                      ; 0x414d4917
	.long	1370834065                      ; 0x51b54491
	;; [unrolled: 1-line block ×3, first 2 shown]
	.long	312378113                       ; 0x129e8301
	.long	3190819203                      ; 0xbe300983
	.long	1247574926                      ; 0x4a5c7b8e
	;; [unrolled: 1-line block ×5, first 2 shown]
	.long	847820646                       ; 0x3288b766
	.long	3992973956                      ; 0xedfff284
	.long	3827223401                      ; 0xe41ecb69
	;; [unrolled: 1-line block ×4, first 2 shown]
	.long	295000614                       ; 0x11955a26
	.long	2238923504                      ; 0x857342f0
	.long	3485717254                      ; 0xcfc3d306
	.long	290246351                       ; 0x114ccecf
	.long	1064210816                      ; 0x3f6e9180
	.long	2848539559                      ; 0xa9c943a7
	;; [unrolled: 1-line block ×3, first 2 shown]
	.long	422213010                       ; 0x192a7592
	.long	2796674561                      ; 0xa6b1de01
	.long	3568250500                      ; 0xd4af2e84
	;; [unrolled: 1-line block ×9, first 2 shown]
	.long	905168850                       ; 0x35f3c7d2
	.long	3916344126                      ; 0xe96eab3e
	.long	1496013046                      ; 0x592b58f6
	.long	206343742                       ; 0xc4c8e3e
	.long	2894205125                      ; 0xac8210c5
	.long	1082918859                      ; 0x408c07cb
	;; [unrolled: 1-line block ×8, first 2 shown]
	.long	446879604                       ; 0x1aa2d774
	.long	587022214                       ; 0x22fd3f86
	.long	1614371566                      ; 0x60395aee
	.long	3040899994                      ; 0xb540739a
	;; [unrolled: 1-line block ×3, first 2 shown]
	.long	937325128                       ; 0x37de7248
	.long	1968833679                      ; 0x755a048f
	.long	169086151                       ; 0xa140cc7
	.long	4075432555                      ; 0xf2ea2a6b
	.long	1196046411                      ; 0x474a384b
	;; [unrolled: 1-line block ×9, first 2 shown]
	.long	694590905                       ; 0x29669db9
	.long	1828365460                      ; 0x6cfaa494
	.long	513716230                       ; 0x1e9eb006
	.long	3106485486                      ; 0xb92934ee
	.long	2441593994                      ; 0x9187c48a
	;; [unrolled: 1-line block ×5, first 2 shown]
	.long	179764922                       ; 0xab6feba
	.long	579361186                       ; 0x228859a2
	.long	3474393871                      ; 0xcf170b0f
	.long	2474241006                      ; 0x9379ebee
	;; [unrolled: 1-line block ×12, first 2 shown]
	.long	334893087                       ; 0x13f6101f
	.long	1892049031                      ; 0x70c66087
	.long	2603159239                      ; 0x9b290ec7
	;; [unrolled: 1-line block ×6, first 2 shown]
	.long	725740783                       ; 0x2b41ecef
	.long	3728108967                      ; 0xde366da7
	.long	573931936                       ; 0x223581a0
	.long	137996587                       ; 0x839a92b
	.long	110756053                       ; 0x69a00d5
	.long	3984787930                      ; 0xed8309da
	.long	3773232816                      ; 0xe0e6f6b0
	;; [unrolled: 1-line block ×5, first 2 shown]
	.long	195827466                       ; 0xbac170a
	.long	1409073281                      ; 0x53fcc081
	.long	867635355                       ; 0x33b7109b
	.long	3049533211                      ; 0xb5c42f1b
	;; [unrolled: 2-line block ×4, first 2 shown]
	.long	1019222771                      ; 0x3cc01af3
	.long	1415565066                      ; 0x545fcf0a
	.long	650794786                       ; 0x26ca5722
	.long	629618803                       ; 0x25873873
	.long	1237709131                      ; 0x49c5f14b
	.long	1241899078                      ; 0x4a05e046
	;; [unrolled: 1-line block ×4, first 2 shown]
	.long	649402117                       ; 0x26b51705
	.long	275078659                       ; 0x10655e03
	;; [unrolled: 1-line block ×3, first 2 shown]
	.long	2173220853                      ; 0x8188b7f5
	.long	3207031798                      ; 0xbf276bf6
	.long	821073585                       ; 0x30f096b1
	.long	3005400729                      ; 0xb322c699
	.long	1085152012                      ; 0x40ae1b0c
	;; [unrolled: 1-line block ×7, first 2 shown]
	.long	495424232                       ; 0x1d8792e8
	.long	2490548037                      ; 0x9472bf45
	.long	581670528                       ; 0x22ab9680
	.long	2467171733                      ; 0x930e0d95
	.long	1208279791                      ; 0x4804e2ef
	;; [unrolled: 1-line block ×9, first 2 shown]
	.long	349440478                       ; 0x14d409de
	.long	3920932491                      ; 0xe9b4ae8b
	.long	657289255                       ; 0x272d7027
	.long	1075951496                      ; 0x4021b788
	.long	2835763703                      ; 0xa90651f7
	;; [unrolled: 1-line block ×4, first 2 shown]
	.long	149487931                       ; 0x8e9013b
	.long	3182766507                      ; 0xbdb529ab
	.long	2927484354                      ; 0xae7dddc2
	;; [unrolled: 1-line block ×4, first 2 shown]
	.long	606130344                       ; 0x2420d0a8
	.long	1168544900                      ; 0x45a69484
	.long	888955615                       ; 0x34fc62df
	.long	3605412824                      ; 0xd6e63bd8
	.long	1336677864                      ; 0x4fac15e8
	.long	53448770                        ; 0x32f9042
	.long	2884036014                      ; 0xabe6e5ae
	.long	4070749843                      ; 0xf2a2b693
	;; [unrolled: 1-line block ×6, first 2 shown]
	.long	312378113                       ; 0x129e8301
	.long	3190819203                      ; 0xbe300983
	.long	1247574926                      ; 0x4a5c7b8e
	.long	1530609481                      ; 0x5b3b3f49
	.long	3536918510                      ; 0xd2d117ee
	.long	1479030180                      ; 0x582835a4
	.long	847820646                       ; 0x3288b766
	.long	3992973956                      ; 0xedfff284
	.long	154171325                       ; 0x93077bd
	.long	4113429617                      ; 0xf52df471
	.long	3504933502                      ; 0xd0e90a7e
	.long	295000614                       ; 0x11955a26
	.long	2238923504                      ; 0x857342f0
	.long	282708664                       ; 0x10d9cab8
	.long	290246351                       ; 0x114ccecf
	.long	1064210816                      ; 0x3f6e9180
	.long	2848539559                      ; 0xa9c943a7
	.long	2617134888                      ; 0x9bfe4f28
	.long	36906646                        ; 0x2332696
	.long	2796674561                      ; 0xa6b1de01
	.long	3568250500                      ; 0xd4af2e84
	;; [unrolled: 1-line block ×9, first 2 shown]
	.long	448215287                       ; 0x1ab738f7
	.long	3916344126                      ; 0xe96eab3e
	.long	1496013046                      ; 0x592b58f6
	.long	206343742                       ; 0xc4c8e3e
	.long	2894205125                      ; 0xac8210c5
	.long	2420861244                      ; 0x904b693c
	;; [unrolled: 1-line block ×8, first 2 shown]
	.long	446879604                       ; 0x1aa2d774
	.long	587022214                       ; 0x22fd3f86
	.long	1614371566                      ; 0x60395aee
	.long	958587333                       ; 0x3922e1c5
	.long	3686422145                      ; 0xdbba5681
	;; [unrolled: 2-line block ×3, first 2 shown]
	.long	169086151                       ; 0xa140cc7
	.long	154576725                       ; 0x936a755
	.long	1196046411                      ; 0x474a384b
	.long	3101745581                      ; 0xb8e0e1ad
	;; [unrolled: 1-line block ×8, first 2 shown]
	.long	694590905                       ; 0x29669db9
	.long	3754606623                      ; 0xdfcac01f
	.long	513716230                       ; 0x1e9eb006
	.long	3106485486                      ; 0xb92934ee
	.long	2441593994                      ; 0x9187c48a
	;; [unrolled: 1-line block ×5, first 2 shown]
	.long	179764922                       ; 0xab6feba
	.long	579361186                       ; 0x228859a2
	.long	3474393871                      ; 0xcf170b0f
	.long	2138270428                      ; 0x7f736adc
	.long	4031850878                      ; 0xf051297e
	.long	3120409532                      ; 0xb9fdabbc
	.long	4011587898                      ; 0xef1bf93a
	.long	3682942579                      ; 0xdb853e73
	.long	4015980199                      ; 0xef5efea7
	.long	3097029759                      ; 0xb898ec7f
	.long	2652540191                      ; 0x9e1a8d1f
	.long	1128762588                      ; 0x43478cdc
	.long	1040256382                      ; 0x3e010d7e
	.long	3908621649                      ; 0xe8f8d551
	.long	334893087                       ; 0x13f6101f
	.long	1892049031                      ; 0x70c66087
	.long	2603159239                      ; 0x9b290ec7
	;; [unrolled: 1-line block ×6, first 2 shown]
	.long	725740783                       ; 0x2b41ecef
	.long	3728108967                      ; 0xde366da7
	.long	436976908                       ; 0x1a0bbd0c
	.long	137996587                       ; 0x839a92b
	;; [unrolled: 1-line block ×3, first 2 shown]
	.long	3984787930                      ; 0xed8309da
	.long	3773232816                      ; 0xe0e6f6b0
	;; [unrolled: 1-line block ×5, first 2 shown]
	.long	195827466                       ; 0xbac170a
	.long	1409073281                      ; 0x53fcc081
	.long	3036813614                      ; 0xb502192e
	;; [unrolled: 1-line block ×3, first 2 shown]
	.long	486687054                       ; 0x1d02414e
	.long	2570137956                      ; 0x99313164
	.long	527522011                       ; 0x1f7158db
	.long	3669951690                      ; 0xdabf04ca
	.long	1019222771                      ; 0x3cc01af3
	;; [unrolled: 1-line block ×3, first 2 shown]
	.long	650794786                       ; 0x26ca5722
	.long	629618803                       ; 0x25873873
	.long	4140569538                      ; 0xf6cc13c2
	.long	1241899078                      ; 0x4a05e046
	;; [unrolled: 1-line block ×4, first 2 shown]
	.long	649402117                       ; 0x26b51705
	.long	2946582304                      ; 0xafa14720
	.long	752459111                       ; 0x2cd99d67
	.long	2173220853                      ; 0x8188b7f5
	.long	3207031798                      ; 0xbf276bf6
	.long	821073585                       ; 0x30f096b1
	.long	1738142977                      ; 0x6799f501
	.long	1085152012                      ; 0x40ae1b0c
	;; [unrolled: 1-line block ×7, first 2 shown]
	.long	495424232                       ; 0x1d8792e8
	.long	2490548037                      ; 0x9472bf45
	.long	581670528                       ; 0x22ab9680
	.long	2365865647                      ; 0x8d043eaf
	.long	1208279791                      ; 0x4804e2ef
	;; [unrolled: 1-line block ×9, first 2 shown]
	.long	349440478                       ; 0x14d409de
	.long	3706519197                      ; 0xdcecfe9d
	.long	657289255                       ; 0x272d7027
	.long	1075951496                      ; 0x4021b788
	.long	2835763703                      ; 0xa90651f7
	.long	1593198055                      ; 0x5ef645e7
	.long	2200084531                      ; 0x8322a033
	.long	149487931                       ; 0x8e9013b
	.long	3182766507                      ; 0xbdb529ab
	.long	2927484354                      ; 0xae7dddc2
	;; [unrolled: 1-line block ×4, first 2 shown]
	.long	606130344                       ; 0x2420d0a8
	.long	1168544900                      ; 0x45a69484
	.long	888955615                       ; 0x34fc62df
	.long	3605412824                      ; 0xd6e63bd8
	.long	1503975597                      ; 0x59a4d8ad
	.long	53448770                        ; 0x32f9042
	.long	2884036014                      ; 0xabe6e5ae
	.long	4070749843                      ; 0xf2a2b693
	;; [unrolled: 1-line block ×3, first 2 shown]
	.long	243605110                       ; 0xe851e76
	.long	2766144383                      ; 0xa4e0037f
	.long	3534389580                      ; 0xd2aa814c
	.long	312378113                       ; 0x129e8301
	.long	3190819203                      ; 0xbe300983
	.long	2398088088                      ; 0x8eefeb98
	;; [unrolled: 1-line block ×5, first 2 shown]
	.long	847820646                       ; 0x3288b766
	.long	2940281320                      ; 0xaf4121e8
	.long	154171325                       ; 0x93077bd
	.long	4113429617                      ; 0xf52df471
	.long	3504933502                      ; 0xd0e90a7e
	.long	295000614                       ; 0x11955a26
	.long	3078701806                      ; 0xb78142ee
	.long	282708664                       ; 0x10d9cab8
	.long	290246351                       ; 0x114ccecf
	.long	1064210816                      ; 0x3f6e9180
	.long	2848539559                      ; 0xa9c943a7
	;; [unrolled: 1-line block ×3, first 2 shown]
	.long	36906646                        ; 0x2332696
	.long	2796674561                      ; 0xa6b1de01
	.long	3568250500                      ; 0xd4af2e84
	;; [unrolled: 1-line block ×9, first 2 shown]
	.long	448215287                       ; 0x1ab738f7
	.long	3916344126                      ; 0xe96eab3e
	.long	1496013046                      ; 0x592b58f6
	.long	206343742                       ; 0xc4c8e3e
	.long	3419083433                      ; 0xcbcb12a9
	.long	2420861244                      ; 0x904b693c
	;; [unrolled: 1-line block ×8, first 2 shown]
	.long	446879604                       ; 0x1aa2d774
	.long	587022214                       ; 0x22fd3f86
	;; [unrolled: 1-line block ×4, first 2 shown]
	.long	3686422145                      ; 0xdbba5681
	.long	937325128                       ; 0x37de7248
	.long	1968833679                      ; 0x755a048f
	.long	1808935939                      ; 0x6bd22c03
	.long	154576725                       ; 0x936a755
	.long	1196046411                      ; 0x474a384b
	.long	3101745581                      ; 0xb8e0e1ad
	;; [unrolled: 1-line block ×3, first 2 shown]
	.long	709576348                       ; 0x2a4b469c
	.long	2487464668                      ; 0x9443b2dc
	.long	1673491641                      ; 0x63bf74b9
	.long	1762746534                      ; 0x691160a6
	.long	3641827252                      ; 0xd911dfb4
	.long	3968332142                      ; 0xec87f16e
	.long	3754606623                      ; 0xdfcac01f
	.long	513716230                       ; 0x1e9eb006
	.long	3106485486                      ; 0xb92934ee
	.long	2441593994                      ; 0x9187c48a
	;; [unrolled: 1-line block ×5, first 2 shown]
	.long	179764922                       ; 0xab6feba
	.long	579361186                       ; 0x228859a2
	.long	1454621561                      ; 0x56b3c379
	.long	2138270428                      ; 0x7f736adc
	.long	4031850878                      ; 0xf051297e
	.long	3120409532                      ; 0xb9fdabbc
	.long	4011587898                      ; 0xef1bf93a
	.long	898119245                       ; 0x3588364d
	.long	4015980199                      ; 0xef5efea7
	.long	3097029759                      ; 0xb898ec7f
	.long	2652540191                      ; 0x9e1a8d1f
	.long	1128762588                      ; 0x43478cdc
	.long	1131456853                      ; 0x4370a955
	.long	3908621649                      ; 0xe8f8d551
	.long	334893087                       ; 0x13f6101f
	.long	1892049031                      ; 0x70c66087
	;; [unrolled: 7-line block ×3, first 2 shown]
	.long	436976908                       ; 0x1a0bbd0c
	.long	137996587                       ; 0x839a92b
	;; [unrolled: 1-line block ×3, first 2 shown]
	.long	3984787930                      ; 0xed8309da
	.long	1295994548                      ; 0x4d3f4eb4
	;; [unrolled: 1-line block ×5, first 2 shown]
	.long	195827466                       ; 0xbac170a
	.long	252558267                       ; 0xf0dbbbb
	.long	3036813614                      ; 0xb502192e
	.long	3049533211                      ; 0xb5c42f1b
	.long	486687054                       ; 0x1d02414e
	.long	2570137956                      ; 0x99313164
	.long	786434419                       ; 0x2ee00973
	.long	3669951690                      ; 0xdabf04ca
	.long	1019222771                      ; 0x3cc01af3
	;; [unrolled: 1-line block ×3, first 2 shown]
	.long	650794786                       ; 0x26ca5722
	.long	1316734597                      ; 0x4e7bc685
	.long	4140569538                      ; 0xf6cc13c2
	;; [unrolled: 1-line block ×7, first 2 shown]
	.long	752459111                       ; 0x2cd99d67
	.long	2173220853                      ; 0x8188b7f5
	.long	3207031798                      ; 0xbf276bf6
	;; [unrolled: 1-line block ×10, first 2 shown]
	.long	495424232                       ; 0x1d8792e8
	.long	2490548037                      ; 0x9472bf45
	.long	240094068                       ; 0xe4f8b74
	.long	2365865647                      ; 0x8d043eaf
	.long	1208279791                      ; 0x4804e2ef
	;; [unrolled: 1-line block ×9, first 2 shown]
	.long	681942656                       ; 0x28a59e80
	.long	3706519197                      ; 0xdcecfe9d
	.long	657289255                       ; 0x272d7027
	.long	1075951496                      ; 0x4021b788
	.long	2835763703                      ; 0xa90651f7
	;; [unrolled: 1-line block ×4, first 2 shown]
	.long	149487931                       ; 0x8e9013b
	.long	3182766507                      ; 0xbdb529ab
	.long	2927484354                      ; 0xae7dddc2
	;; [unrolled: 1-line block ×4, first 2 shown]
	.long	606130344                       ; 0x2420d0a8
	.long	1168544900                      ; 0x45a69484
	.long	888955615                       ; 0x34fc62df
	.long	757163746                       ; 0x2d2166e2
	.long	1503975597                      ; 0x59a4d8ad
	.long	53448770                        ; 0x32f9042
	.long	2884036014                      ; 0xabe6e5ae
	.long	4070749843                      ; 0xf2a2b693
	;; [unrolled: 1-line block ×3, first 2 shown]
	.long	243605110                       ; 0xe851e76
	.long	2766144383                      ; 0xa4e0037f
	.long	3534389580                      ; 0xd2aa814c
	.long	312378113                       ; 0x129e8301
	.long	2256467250                      ; 0x867ef532
	.long	2398088088                      ; 0x8eefeb98
	;; [unrolled: 1-line block ×7, first 2 shown]
	.long	154171325                       ; 0x93077bd
	.long	4113429617                      ; 0xf52df471
	.long	3504933502                      ; 0xd0e90a7e
	.long	714934244                       ; 0x2a9d07e4
	.long	3078701806                      ; 0xb78142ee
	.long	282708664                       ; 0x10d9cab8
	.long	290246351                       ; 0x114ccecf
	.long	1064210816                      ; 0x3f6e9180
	.long	3694453051                      ; 0xdc34e13b
	;; [unrolled: 1-line block ×3, first 2 shown]
	.long	36906646                        ; 0x2332696
	.long	2796674561                      ; 0xa6b1de01
	.long	3568250500                      ; 0xd4af2e84
	;; [unrolled: 1-line block ×9, first 2 shown]
	.long	448215287                       ; 0x1ab738f7
	.long	3916344126                      ; 0xe96eab3e
	.long	1496013046                      ; 0x592b58f6
	;; [unrolled: 1-line block ×11, first 2 shown]
	.long	446879604                       ; 0x1aa2d774
	.long	3719452721                      ; 0xddb25831
	.long	506352928                       ; 0x1e2e5520
	.long	958587333                       ; 0x3922e1c5
	.long	3686422145                      ; 0xdbba5681
	.long	937325128                       ; 0x37de7248
	.long	2653904510                      ; 0x9e2f5e7e
	.long	1808935939                      ; 0x6bd22c03
	.long	154576725                       ; 0x936a755
	.long	1196046411                      ; 0x474a384b
	.long	3101745581                      ; 0xb8e0e1ad
	.long	425411544                       ; 0x195b43d8
	.long	709576348                       ; 0x2a4b469c
	.long	2487464668                      ; 0x9443b2dc
	.long	1673491641                      ; 0x63bf74b9
	;; [unrolled: 1-line block ×6, first 2 shown]
	.long	513716230                       ; 0x1e9eb006
	.long	3106485486                      ; 0xb92934ee
	.long	2881551071                      ; 0xabc0fadf
	.long	1453443785                      ; 0x56a1cac9
	.long	3064108377                      ; 0xb6a29559
	.long	3957990629                      ; 0xebea24e5
	.long	179764922                       ; 0xab6feba
	.long	1408218536                      ; 0x53efb5a8
	.long	1454621561                      ; 0x56b3c379
	.long	2138270428                      ; 0x7f736adc
	.long	4031850878                      ; 0xf051297e
	.long	3120409532                      ; 0xb9fdabbc
	.long	3700386494                      ; 0xdc8f6abe
	.long	898119245                       ; 0x3588364d
	.long	4015980199                      ; 0xef5efea7
	;; [unrolled: 7-line block ×3, first 2 shown]
	.long	4220220071                      ; 0xfb8b72a7
	.long	4280222837                      ; 0xff1f0475
	;; [unrolled: 1-line block ×7, first 2 shown]
	.long	436976908                       ; 0x1a0bbd0c
	.long	137996587                       ; 0x839a92b
	;; [unrolled: 1-line block ×3, first 2 shown]
	.long	1360813614                      ; 0x511c5e2e
	.long	1295994548                      ; 0x4d3f4eb4
	;; [unrolled: 1-line block ×6, first 2 shown]
	.long	252558267                       ; 0xf0dbbbb
	.long	3036813614                      ; 0xb502192e
	.long	3049533211                      ; 0xb5c42f1b
	.long	486687054                       ; 0x1d02414e
	.long	387915679                       ; 0x171f1f9f
	;; [unrolled: 1-line block ×3, first 2 shown]
	.long	3669951690                      ; 0xdabf04ca
	.long	1019222771                      ; 0x3cc01af3
	;; [unrolled: 1-line block ×11, first 2 shown]
	.long	752459111                       ; 0x2cd99d67
	.long	2173220853                      ; 0x8188b7f5
	.long	1128460687                      ; 0x4342f18f
	.long	2268047031                      ; 0x872fa6b7
	.long	239933818                       ; 0xe4d197a
	.long	4141570430                      ; 0xf6db597e
	.long	1318816940                      ; 0x4e9b8cac
	.long	2378987660                      ; 0x8dcc788c
	;; [unrolled: 4-line block ×3, first 2 shown]
	.long	431933385                       ; 0x19bec7c9
	.long	154404673                       ; 0x9340741
	.long	2020658234                      ; 0x7870cc3a
	.long	846815781                       ; 0x32796225
	.long	822137193                       ; 0x3100d169
	.long	1057315444                      ; 0x3f055a74
	.long	3632584082                      ; 0xd884d592
	;; [unrolled: 1-line block ×3, first 2 shown]
	.long	942201956                       ; 0x3828dc64
	.long	2704683551                      ; 0xa136321f
	.long	1768107067                      ; 0x69632c3b
	;; [unrolled: 1-line block ×4, first 2 shown]
	.long	701246680                       ; 0x29cc2cd8
	.long	3548419575                      ; 0xd38095f7
	.long	3873366129                      ; 0xe6dee071
	;; [unrolled: 1-line block ×4, first 2 shown]
	.long	66597794                        ; 0x3f833a2
	.long	2515774132                      ; 0x95f3aab4
	.long	516246524                       ; 0x1ec54bfc
	.long	4232115668                      ; 0xfc40f5d4
	.long	34426096                        ; 0x20d4cf0
	.long	2206423458                      ; 0x838359a2
	.long	3628832867                      ; 0xd84b9863
	;; [unrolled: 1-line block ×11, first 2 shown]
	.long	71509976                        ; 0x44327d8
	.long	115529187                       ; 0x6e2d5e3
	.long	1841252918                      ; 0x6dbf4a36
	.long	2217805156                      ; 0x84310564
	.long	733917373                       ; 0x2bbeb0bd
	.long	2432474677                      ; 0x90fc9e35
	.long	1416887641                      ; 0x5473fd59
	;; [unrolled: 1-line block ×4, first 2 shown]
	.long	510547269                       ; 0x1e6e5545
	.long	2614743018                      ; 0x9bd9cfea
	.long	759552691                       ; 0x2d45dab3
	.long	2264773752                      ; 0x86fdb478
	;; [unrolled: 2-line block ×3, first 2 shown]
	.long	1681067734                      ; 0x64330ed6
	.long	1085957001                      ; 0x40ba6389
	.long	846460632                       ; 0x3273f6d8
	.long	2824079919                      ; 0xa8540a2f
	.long	1820633139                      ; 0x6c84a833
	;; [unrolled: 1-line block ×14, first 2 shown]
	.long	592016143                       ; 0x2349730f
	.long	1116895096                      ; 0x42927778
	.long	889321536                       ; 0x3501f840
	.long	375621825                       ; 0x166388c1
	.long	2935845994                      ; 0xaefd746a
	.long	1982459859                      ; 0x7629efd3
	;; [unrolled: 1-line block ×3, first 2 shown]
	.long	294519309                       ; 0x118e020d
	.long	2661638345                      ; 0x9ea560c9
	.long	1089335942                      ; 0x40edf286
	.long	227150969                       ; 0xd8a0c79
	.long	1454919198                      ; 0x56b84e1e
	.long	3780503305                      ; 0xe155e709
	.long	1862290968                      ; 0x6f004e18
	.long	1491836299                      ; 0x58eb9d8b
	.long	766546986                       ; 0x2db0942a
	.long	3638407467                      ; 0xd8ddb12b
	.long	925906735                       ; 0x3730372f
	.long	208891816                       ; 0xc736fa8
	;; [unrolled: 1-line block ×3, first 2 shown]
	.long	2853181150                      ; 0xaa1016de
	.long	3889751556                      ; 0xe7d8e604
	;; [unrolled: 1-line block ×3, first 2 shown]
	.long	853579433                       ; 0x32e096a9
	.long	2131555681                      ; 0x7f0cf561
	.long	1396396345                      ; 0x533b5139
	;; [unrolled: 1-line block ×3, first 2 shown]
	.long	978252562                       ; 0x3a4ef312
	.long	2134024308                      ; 0x7f32a074
	.long	2429920974                      ; 0x90d5a6ce
	;; [unrolled: 1-line block ×5, first 2 shown]
	.long	916521377                       ; 0x36a101a1
	.long	3950270431                      ; 0xeb7457df
	.long	2663319810                      ; 0x9ebf0902
	;; [unrolled: 1-line block ×20, first 2 shown]
	.long	639953781                       ; 0x2624eb75
	.long	785902378                       ; 0x2ed7eb2a
	.long	3852544833                      ; 0xe5a12b41
	.long	553508260                       ; 0x20fddda4
	.long	23014564                        ; 0x15f2ca4
	.long	106722100                       ; 0x65c7334
	.long	2705412979                      ; 0xa1415373
	.long	3449440367                      ; 0xcd9a486f
	.long	950636401                       ; 0x38a98f71
	.long	870804158                       ; 0x33e76abe
	;; [unrolled: 1-line block ×5, first 2 shown]
	.long	2739378330                      ; 0xa347989a
	.long	377730945                       ; 0x1683b781
	.long	418426029                       ; 0x18f0acad
	;; [unrolled: 1-line block ×4, first 2 shown]
	.long	4222664331                      ; 0xfbb0be8b
	.long	3346048120                      ; 0xc770a478
	;; [unrolled: 1-line block ×5, first 2 shown]
	.long	698046507                       ; 0x299b582b
	.long	1671346285                      ; 0x639eb86d
	.long	4127293033                      ; 0xf6017e69
	.long	568612264                       ; 0x21e455a8
	.long	3467142937                      ; 0xcea86719
	.long	1627988025                      ; 0x61092039
	;; [unrolled: 1-line block ×4, first 2 shown]
	.long	215030128                       ; 0xcd11970
	.long	871645668                       ; 0x33f441e4
	.long	3402612852                      ; 0xcacfc074
	.long	423273439                       ; 0x193aa3df
	.long	316965236                       ; 0x12e48174
	.long	47416561                        ; 0x2d384f1
	.long	1470716454                      ; 0x57a95a26
	.long	2288582385                      ; 0x8868fef1
	;; [unrolled: 1-line block ×4, first 2 shown]
	.long	167227868                       ; 0x9f7b1dc
	.long	3085506034                      ; 0xb7e915f2
	.long	3365950545                      ; 0xc8a05451
	;; [unrolled: 1-line block ×4, first 2 shown]
	.long	197195155                       ; 0xbc0f593
	.long	2644113318                      ; 0x9d99f7a6
	.long	2491271090                      ; 0x947dc7b2
	;; [unrolled: 1-line block ×3, first 2 shown]
	.long	170335901                       ; 0xa271e9d
	.long	2540851884                      ; 0x977252ac
	.long	2584420407                      ; 0x9a0b2037
	;; [unrolled: 1-line block ×7, first 2 shown]
	.long	110647395                       ; 0x6985863
	.long	3262987676                      ; 0xc27d3d9c
	.long	1447103309                      ; 0x56410b4d
	;; [unrolled: 1-line block ×6, first 2 shown]
	.long	38676169                        ; 0x24e26c9
	.long	2431628817                      ; 0x90efb611
	.long	2836918800                      ; 0xa917f210
	.long	272023527                       ; 0x1036bfe7
	.long	2825888902                      ; 0xa86fa486
	.long	2794421955                      ; 0xa68f7ec3
	;; [unrolled: 1-line block ×3, first 2 shown]
	.long	452404203                       ; 0x1af723eb
	.long	584718212                       ; 0x22da1784
	.long	1915053836                      ; 0x7225670c
	.long	1455821656                      ; 0x56c61358
	;; [unrolled: 1-line block ×6, first 2 shown]
	.long	441521402                       ; 0x1a5114fa
	.long	3807587668                      ; 0xe2f32d54
	.long	275969953                       ; 0x1072f7a1
	.long	3970844623                      ; 0xecae47cf
	.long	3323695518                      ; 0xc61b919e
	;; [unrolled: 1-line block ×3, first 2 shown]
	.long	290225599                       ; 0x114c7dbf
	.long	957520066                       ; 0x391298c2
	.long	4048181850                      ; 0xf14a5a5a
	.long	2623778463                      ; 0x9c63ae9f
	;; [unrolled: 1-line block ×3, first 2 shown]
	.long	540091753                       ; 0x20312569
	.long	3072448879                      ; 0xb721d96f
	.long	2386916346                      ; 0x8e4573fa
	.long	392549194                       ; 0x1765d34a
	.long	1261391184                      ; 0x4b2f4d50
	.long	4137605148                      ; 0xf69ed81c
	;; [unrolled: 3-line block ×3, first 2 shown]
	.long	2332027308                      ; 0x8affe9ac
	.long	1967082817                      ; 0x753f4d41
	;; [unrolled: 1-line block ×8, first 2 shown]
	.long	59190648                        ; 0x3872d78
	.long	1657183299                      ; 0x62c69c43
	.long	1314626253                      ; 0x4e5b9acd
	.long	500606287                       ; 0x1dd6a54f
	.long	413229420                       ; 0x18a1616c
	.long	1245395908                      ; 0x4a3b3bc4
	.long	664681                          ; 0xa2469
	.long	2726979120                      ; 0xa28a6630
	.long	3408998445                      ; 0xcb31302d
	;; [unrolled: 1-line block ×7, first 2 shown]
	.long	229857331                       ; 0xdb35833
	.long	3086071450                      ; 0xb7f1b69a
	.long	1327801028                      ; 0x4f24a2c4
	.long	812015573                       ; 0x30665fd5
	.long	2214355282                      ; 0x83fc6152
	.long	2232635690                      ; 0x8513512a
	;; [unrolled: 1-line block ×4, first 2 shown]
	.long	470752564                       ; 0x1c0f1d34
	.long	2527480795                      ; 0x96a64bdb
	.long	1285499716                      ; 0x4c9f2b44
	.long	220173566                       ; 0xd1f94fe
	.long	4239277569                      ; 0xfcae3e01
	.long	788168494                       ; 0x2efa7f2e
	.long	3748855859                      ; 0xdf730033
	.long	1360707769                      ; 0x511ac0b9
	.long	449512212                       ; 0x1acb0314
	.long	1238219398                      ; 0x49cdba86
	.long	2880205975                      ; 0xabac7497
	;; [unrolled: 1-line block ×3, first 2 shown]
	.long	372409230                       ; 0x1632838e
	.long	411800575                       ; 0x188b93ff
	.long	2455333195                      ; 0x9259694b
	.long	4080817864                      ; 0xf33c56c8
	;; [unrolled: 1-line block ×9, first 2 shown]
	.long	4214448                         ; 0x404eb0
	.long	460332681                       ; 0x1b701e89
	.long	30890894                        ; 0x1d75b8e
	.long	1108618048                      ; 0x42142b40
	.long	272438799                       ; 0x103d160f
	.long	3339891045                      ; 0xc712b165
	.long	1512685591                      ; 0x5a29c017
	;; [unrolled: 1-line block ×7, first 2 shown]
	.long	861206186                       ; 0x3354f6aa
	.long	290322827                       ; 0x114df98b
	.long	2736623609                      ; 0xa31d8ff9
	.long	327318125                       ; 0x13827a6d
	.long	1922859957                      ; 0x729c83b5
	.long	1939922519                      ; 0x73a0de57
	;; [unrolled: 1-line block ×6, first 2 shown]
	.long	47774461                        ; 0x2d8fafd
	.long	3858864626                      ; 0xe60199f2
	.long	3294523981                      ; 0xc45e724d
	;; [unrolled: 1-line block ×3, first 2 shown]
	.long	565017248                       ; 0x21ad7aa0
	.long	2633378137                      ; 0x9cf62959
	.long	811307482                       ; 0x305b91da
	.long	1743357106                      ; 0x67e984b2
	;; [unrolled: 2-line block ×3, first 2 shown]
	.long	1799884674                      ; 0x6b480f82
	.long	1720546272                      ; 0x668d73e0
	;; [unrolled: 1-line block ×5, first 2 shown]
	.long	576775454                       ; 0x2260e51e
	.long	2246605826                      ; 0x85e87c02
	.long	215030128                       ; 0xcd11970
	.long	871645668                       ; 0x33f441e4
	.long	3402612852                      ; 0xcacfc074
	.long	619000856                       ; 0x24e53418
	.long	316965236                       ; 0x12e48174
	.long	47416561                        ; 0x2d384f1
	.long	1470716454                      ; 0x57a95a26
	.long	2288582385                      ; 0x8868fef1
	;; [unrolled: 1-line block ×4, first 2 shown]
	.long	167227868                       ; 0x9f7b1dc
	.long	3085506034                      ; 0xb7e915f2
	.long	3365950545                      ; 0xc8a05451
	.long	901169164                       ; 0x35b6c00c
	.long	1345986409                      ; 0x503a1f69
	.long	197195155                       ; 0xbc0f593
	.long	2644113318                      ; 0x9d99f7a6
	.long	2491271090                      ; 0x947dc7b2
	;; [unrolled: 1-line block ×3, first 2 shown]
	.long	170335901                       ; 0xa271e9d
	.long	2540851884                      ; 0x977252ac
	.long	2584420407                      ; 0x9a0b2037
	;; [unrolled: 1-line block ×7, first 2 shown]
	.long	110647395                       ; 0x6985863
	.long	2822981113                      ; 0xa84345f9
	.long	1447103309                      ; 0x56410b4d
	;; [unrolled: 1-line block ×6, first 2 shown]
	.long	38676169                        ; 0x24e26c9
	.long	2431628817                      ; 0x90efb611
	.long	2836918800                      ; 0xa917f210
	.long	272023527                       ; 0x1036bfe7
	.long	4010280501                      ; 0xef080635
	.long	2794421955                      ; 0xa68f7ec3
	;; [unrolled: 1-line block ×3, first 2 shown]
	.long	452404203                       ; 0x1af723eb
	.long	584718212                       ; 0x22da1784
	.long	3991257933                      ; 0xede5c34d
	.long	1455821656                      ; 0x56c61358
	;; [unrolled: 1-line block ×6, first 2 shown]
	.long	441521402                       ; 0x1a5114fa
	.long	3807587668                      ; 0xe2f32d54
	.long	275969953                       ; 0x1072f7a1
	.long	3970844623                      ; 0xecae47cf
	.long	3965914153                      ; 0xec630c29
	;; [unrolled: 1-line block ×3, first 2 shown]
	.long	290225599                       ; 0x114c7dbf
	.long	957520066                       ; 0x391298c2
	.long	4048181850                      ; 0xf14a5a5a
	.long	4011285909                      ; 0xef175d95
	;; [unrolled: 1-line block ×3, first 2 shown]
	.long	540091753                       ; 0x20312569
	.long	3072448879                      ; 0xb721d96f
	.long	2386916346                      ; 0x8e4573fa
	;; [unrolled: 1-line block ×5, first 2 shown]
	.long	314807135                       ; 0x12c3935f
	.long	2916930821                      ; 0xaddcd505
	.long	840822698                       ; 0x321defaa
	.long	2332027308                      ; 0x8affe9ac
	.long	1967082817                      ; 0x753f4d41
	;; [unrolled: 1-line block ×4, first 2 shown]
	.long	960593185                       ; 0x39417d21
	.long	2088102210                      ; 0x7c75e942
	.long	4170914605                      ; 0xf89b1b2d
	;; [unrolled: 1-line block ×3, first 2 shown]
	.long	59190648                        ; 0x3872d78
	.long	2261593014                      ; 0x86cd2bb6
	.long	1314626253                      ; 0x4e5b9acd
	.long	500606287                       ; 0x1dd6a54f
	.long	413229420                       ; 0x18a1616c
	.long	1245395908                      ; 0x4a3b3bc4
	.long	3401527918                      ; 0xcabf326e
	;; [unrolled: 1-line block ×9, first 2 shown]
	.long	229857331                       ; 0xdb35833
	.long	3086071450                      ; 0xb7f1b69a
	.long	3363644507                      ; 0xc87d245b
	.long	812015573                       ; 0x30665fd5
	.long	2214355282                      ; 0x83fc6152
	.long	2232635690                      ; 0x8513512a
	.long	3162540418                      ; 0xbc808982
	.long	3579858747                      ; 0xd5604f3b
	.long	470752564                       ; 0x1c0f1d34
	.long	2527480795                      ; 0x96a64bdb
	.long	1285499716                      ; 0x4c9f2b44
	.long	220173566                       ; 0xd1f94fe
	.long	2294101261                      ; 0x88bd350d
	.long	788168494                       ; 0x2efa7f2e
	.long	3748855859                      ; 0xdf730033
	.long	1360707769                      ; 0x511ac0b9
	.long	449512212                       ; 0x1acb0314
	.long	28595866                        ; 0x1b4569a
	.long	2880205975                      ; 0xabac7497
	.long	2755133627                      ; 0xa43800bb
	.long	372409230                       ; 0x1632838e
	.long	411800575                       ; 0x188b93ff
	.long	1905311140                      ; 0x7190bda4
	.long	4080817864                      ; 0xf33c56c8
	;; [unrolled: 1-line block ×5, first 2 shown]
	.long	148561593                       ; 0x8dadeb9
	.long	1026062474                      ; 0x3d28788a
	.long	1849785784                      ; 0x6e417db8
	;; [unrolled: 1-line block ×3, first 2 shown]
	.long	4214448                         ; 0x404eb0
	.long	2237247821                      ; 0x8559b14d
	.long	30890894                        ; 0x1d75b8e
	.long	1108618048                      ; 0x42142b40
	.long	272438799                       ; 0x103d160f
	.long	3339891045                      ; 0xc712b165
	.long	169576507                       ; 0xa1b883b
	.long	1310038443                      ; 0x4e1599ab
	.long	2431938882                      ; 0x90f47142
	;; [unrolled: 1-line block ×5, first 2 shown]
	.long	861206186                       ; 0x3354f6aa
	.long	290322827                       ; 0x114df98b
	.long	2736623609                      ; 0xa31d8ff9
	.long	327318125                       ; 0x13827a6d
	.long	3408620608                      ; 0xcb2b6c40
	.long	1939922519                      ; 0x73a0de57
	;; [unrolled: 1-line block ×6, first 2 shown]
	.long	47774461                        ; 0x2d8fafd
	.long	3858864626                      ; 0xe60199f2
	.long	3294523981                      ; 0xc45e724d
	;; [unrolled: 1-line block ×5, first 2 shown]
	.long	811307482                       ; 0x305b91da
	.long	1743357106                      ; 0x67e984b2
	.long	419676111                       ; 0x1903bfcf
	.long	3111013241                      ; 0xb96e4b79
	.long	1799884674                      ; 0x6b480f82
	;; [unrolled: 1-line block ×6, first 2 shown]
	.long	576775454                       ; 0x2260e51e
	.long	2246605826                      ; 0x85e87c02
	.long	215030128                       ; 0xcd11970
	.long	871645668                       ; 0x33f441e4
	.long	2968519387                      ; 0xb0f002db
	.long	619000856                       ; 0x24e53418
	.long	316965236                       ; 0x12e48174
	.long	47416561                        ; 0x2d384f1
	.long	1470716454                      ; 0x57a95a26
	.long	9648980                         ; 0x933b54
	.long	3464704266                      ; 0xce83310a
	.long	2148091363                      ; 0x800945e3
	.long	167227868                       ; 0x9f7b1dc
	.long	3085506034                      ; 0xb7e915f2
	.long	1505294373                      ; 0x59b8f825
	.long	901169164                       ; 0x35b6c00c
	.long	1345986409                      ; 0x503a1f69
	.long	197195155                       ; 0xbc0f593
	.long	2644113318                      ; 0x9d99f7a6
	.long	1227359150                      ; 0x492803ae
	;; [unrolled: 1-line block ×3, first 2 shown]
	.long	170335901                       ; 0xa271e9d
	.long	2540851884                      ; 0x977252ac
	.long	2584420407                      ; 0x9a0b2037
	;; [unrolled: 1-line block ×12, first 2 shown]
	.long	532996977                       ; 0x1fc4e371
	.long	1947501555                      ; 0x741483f3
	.long	38676169                        ; 0x24e26c9
	.long	2431628817                      ; 0x90efb611
	.long	2836918800                      ; 0xa917f210
	;; [unrolled: 1-line block ×6, first 2 shown]
	.long	452404203                       ; 0x1af723eb
	.long	1222630846                      ; 0x48dfddbe
	.long	3991257933                      ; 0xede5c34d
	;; [unrolled: 1-line block ×7, first 2 shown]
	.long	441521402                       ; 0x1a5114fa
	.long	3807587668                      ; 0xe2f32d54
	.long	275969953                       ; 0x1072f7a1
	.long	963889269                       ; 0x3973c875
	.long	3965914153                      ; 0xec630c29
	.long	3909107329                      ; 0xe9003e81
	.long	290225599                       ; 0x114c7dbf
	.long	957520066                       ; 0x391298c2
	.long	4176220201                      ; 0xf8ec1029
	.long	4011285909                      ; 0xef175d95
	;; [unrolled: 1-line block ×3, first 2 shown]
	.long	540091753                       ; 0x20312569
	.long	3072448879                      ; 0xb721d96f
	.long	1810164615                      ; 0x6be4eb87
	;; [unrolled: 1-line block ×5, first 2 shown]
	.long	314807135                       ; 0x12c3935f
	.long	2672526663                      ; 0x9f4b8547
	.long	840822698                       ; 0x321defaa
	.long	2332027308                      ; 0x8affe9ac
	.long	1967082817                      ; 0x753f4d41
	;; [unrolled: 1-line block ×3, first 2 shown]
	.long	734862208                       ; 0x2bcd1b80
	.long	960593185                       ; 0x39417d21
	.long	2088102210                      ; 0x7c75e942
	.long	4170914605                      ; 0xf89b1b2d
	;; [unrolled: 1-line block ×6, first 2 shown]
	.long	500606287                       ; 0x1dd6a54f
	.long	413229420                       ; 0x18a1616c
	;; [unrolled: 1-line block ×3, first 2 shown]
	.long	3401527918                      ; 0xcabf326e
	.long	2726979120                      ; 0xa28a6630
	;; [unrolled: 1-line block ×4, first 2 shown]
	.long	708987193                       ; 0x2a424939
	.long	1683077666                      ; 0x6451ba22
	.long	4262833629                      ; 0xfe15addd
	.long	1348801932                      ; 0x5065158c
	.long	229857331                       ; 0xdb35833
	.long	749849397                       ; 0x2cb1cb35
	.long	3363644507                      ; 0xc87d245b
	.long	812015573                       ; 0x30665fd5
	.long	2214355282                      ; 0x83fc6152
	.long	2232635690                      ; 0x8513512a
	;; [unrolled: 1-line block ×4, first 2 shown]
	.long	470752564                       ; 0x1c0f1d34
	.long	2527480795                      ; 0x96a64bdb
	.long	1285499716                      ; 0x4c9f2b44
	.long	941862108                       ; 0x3823acdc
	.long	2294101261                      ; 0x88bd350d
	.long	788168494                       ; 0x2efa7f2e
	.long	3748855859                      ; 0xdf730033
	.long	1360707769                      ; 0x511ac0b9
	;; [unrolled: 1-line block ×3, first 2 shown]
	.long	28595866                        ; 0x1b4569a
	.long	2880205975                      ; 0xabac7497
	.long	2755133627                      ; 0xa43800bb
	.long	372409230                       ; 0x1632838e
	.long	570110534                       ; 0x21fb3246
	.long	1905311140                      ; 0x7190bda4
	.long	4080817864                      ; 0xf33c56c8
	.long	3556684908                      ; 0xd3feb46c
	.long	2857940866                      ; 0xaa58b782
	.long	2253777974                      ; 0x8655ec36
	.long	148561593                       ; 0x8dadeb9
	.long	1026062474                      ; 0x3d28788a
	.long	1849785784                      ; 0x6e417db8
	;; [unrolled: 1-line block ×5, first 2 shown]
	.long	30890894                        ; 0x1d75b8e
	.long	1108618048                      ; 0x42142b40
	.long	272438799                       ; 0x103d160f
	.long	3996203631                      ; 0xee313a6f
	.long	169576507                       ; 0xa1b883b
	.long	1310038443                      ; 0x4e1599ab
	.long	2431938882                      ; 0x90f47142
	;; [unrolled: 1-line block ×5, first 2 shown]
	.long	861206186                       ; 0x3354f6aa
	.long	290322827                       ; 0x114df98b
	.long	2736623609                      ; 0xa31d8ff9
	.long	1184217272                      ; 0x4695b8b8
	;; [unrolled: 1-line block ×8, first 2 shown]
	.long	47774461                        ; 0x2d8fafd
	.long	3858864626                      ; 0xe60199f2
	.long	3294523981                      ; 0xc45e724d
	.long	2611619                         ; 0x27d9a3
	.long	1228896851                      ; 0x493f7a53
	.long	2633378137                      ; 0x9cf62959
	.long	811307482                       ; 0x305b91da
	.long	1743357106                      ; 0x67e984b2
	.long	1930089302                      ; 0x730ad356
	;; [unrolled: 1-line block ×8, first 2 shown]
	.long	576775454                       ; 0x2260e51e
	.long	2246605826                      ; 0x85e87c02
	.long	215030128                       ; 0xcd11970
	.long	540197019                       ; 0x2032c09b
	.long	2968519387                      ; 0xb0f002db
	.long	619000856                       ; 0x24e53418
	.long	316965236                       ; 0x12e48174
	.long	47416561                        ; 0x2d384f1
	.long	3585128733                      ; 0xd5b0b91d
	.long	9648980                         ; 0x933b54
	.long	3464704266                      ; 0xce83310a
	.long	2148091363                      ; 0x800945e3
	.long	167227868                       ; 0x9f7b1dc
	.long	509283324                       ; 0x1e5b0bfc
	.long	1505294373                      ; 0x59b8f825
	.long	901169164                       ; 0x35b6c00c
	.long	1345986409                      ; 0x503a1f69
	;; [unrolled: 2-line block ×3, first 2 shown]
	.long	1227359150                      ; 0x492803ae
	.long	3243741640                      ; 0xc15791c8
	.long	170335901                       ; 0xa271e9d
	.long	2540851884                      ; 0x977252ac
	.long	2812935262                      ; 0xa7a9fc5e
	;; [unrolled: 1-line block ×11, first 2 shown]
	.long	389184524                       ; 0x17327c0c
	.long	532996977                       ; 0x1fc4e371
	.long	1947501555                      ; 0x741483f3
	.long	38676169                        ; 0x24e26c9
	.long	2431628817                      ; 0x90efb611
	.long	1055068556                      ; 0x3ee3118c
	;; [unrolled: 1-line block ×6, first 2 shown]
	.long	965687576                       ; 0x398f3918
	.long	1222630846                      ; 0x48dfddbe
	.long	3991257933                      ; 0xede5c34d
	;; [unrolled: 1-line block ×7, first 2 shown]
	.long	441521402                       ; 0x1a5114fa
	.long	3807587668                      ; 0xe2f32d54
	.long	3701529910                      ; 0xdca0dd36
	.long	963889269                       ; 0x3973c875
	.long	3965914153                      ; 0xec630c29
	.long	3909107329                      ; 0xe9003e81
	;; [unrolled: 3-line block ×3, first 2 shown]
	.long	4011285909                      ; 0xef175d95
	.long	1957371891                      ; 0x74ab1ff3
	.long	540091753                       ; 0x20312569
	.long	1670159873                      ; 0x638c9e01
	.long	1810164615                      ; 0x6be4eb87
	;; [unrolled: 1-line block ×7, first 2 shown]
	.long	840822698                       ; 0x321defaa
	.long	2332027308                      ; 0x8affe9ac
	.long	1967082817                      ; 0x753f4d41
	;; [unrolled: 1-line block ×3, first 2 shown]
	.long	734862208                       ; 0x2bcd1b80
	.long	960593185                       ; 0x39417d21
	.long	2088102210                      ; 0x7c75e942
	.long	4170914605                      ; 0xf89b1b2d
	;; [unrolled: 1-line block ×6, first 2 shown]
	.long	500606287                       ; 0x1dd6a54f
	.long	1100764382                      ; 0x419c54de
	.long	970185057                       ; 0x39d3d961
	.long	3401527918                      ; 0xcabf326e
	.long	2726979120                      ; 0xa28a6630
	;; [unrolled: 1-line block ×4, first 2 shown]
	.long	708987193                       ; 0x2a424939
	.long	1683077666                      ; 0x6451ba22
	.long	4262833629                      ; 0xfe15addd
	;; [unrolled: 1-line block ×4, first 2 shown]
	.long	749849397                       ; 0x2cb1cb35
	.long	3363644507                      ; 0xc87d245b
	.long	812015573                       ; 0x30665fd5
	.long	2214355282                      ; 0x83fc6152
	.long	3217409412                      ; 0xbfc5c584
	;; [unrolled: 1-line block ×4, first 2 shown]
	.long	470752564                       ; 0x1c0f1d34
	.long	2527480795                      ; 0x96a64bdb
	.long	552979949                       ; 0x20f5cded
	.long	941862108                       ; 0x3823acdc
	.long	2294101261                      ; 0x88bd350d
	.long	788168494                       ; 0x2efa7f2e
	.long	3748855859                      ; 0xdf730033
	.long	2355231228                      ; 0x8c61f9fc
	;; [unrolled: 1-line block ×3, first 2 shown]
	.long	28595866                        ; 0x1b4569a
	.long	2880205975                      ; 0xabac7497
	.long	2755133627                      ; 0xa43800bb
	.long	833553378                       ; 0x31af03e2
	.long	570110534                       ; 0x21fb3246
	.long	1905311140                      ; 0x7190bda4
	.long	4080817864                      ; 0xf33c56c8
	;; [unrolled: 1-line block ×5, first 2 shown]
	.long	148561593                       ; 0x8dadeb9
	.long	1026062474                      ; 0x3d28788a
	.long	1849785784                      ; 0x6e417db8
	.long	656329297                       ; 0x271eca51
	.long	1525559608                      ; 0x5aee3138
	.long	2237247821                      ; 0x8559b14d
	.long	30890894                        ; 0x1d75b8e
	.long	1108618048                      ; 0x42142b40
	.long	1464443032                      ; 0x5749a098
	;; [unrolled: 1-line block ×3, first 2 shown]
	.long	169576507                       ; 0xa1b883b
	.long	1310038443                      ; 0x4e1599ab
	.long	2431938882                      ; 0x90f47142
	;; [unrolled: 1-line block ×5, first 2 shown]
	.long	861206186                       ; 0x3354f6aa
	.long	290322827                       ; 0x114df98b
	.long	3653047356                      ; 0xd9bd143c
	.long	1184217272                      ; 0x4695b8b8
	;; [unrolled: 1-line block ×8, first 2 shown]
	.long	47774461                        ; 0x2d8fafd
	.long	3858864626                      ; 0xe60199f2
	.long	1046565728                      ; 0x3e615360
	.long	2611619                         ; 0x27d9a3
	.long	1228896851                      ; 0x493f7a53
	.long	2633378137                      ; 0x9cf62959
	.long	811307482                       ; 0x305b91da
	.long	1312393456                      ; 0x4e3988f0
	.long	1930089302                      ; 0x730ad356
	;; [unrolled: 1-line block ×18, first 2 shown]
	.long	520376289                       ; 0x1f044fe1
	.long	4154435769                      ; 0xf79fa8b9
	.long	1280565077                      ; 0x4c53df55
	;; [unrolled: 1-line block ×8, first 2 shown]
	.long	561022685                       ; 0x217086dd
	.long	2712685799                      ; 0xa1b04ce7
	.long	1501252058                      ; 0x597b49da
	;; [unrolled: 1-line block ×6, first 2 shown]
	.long	892700607                       ; 0x353587bf
	.long	2012017510                      ; 0x77ecf366
	.long	3568315757                      ; 0xd4b02d6d
	;; [unrolled: 1-line block ×6, first 2 shown]
	.long	199831087                       ; 0xbe92e2f
	.long	1261208885                      ; 0x4b2c8535
	.long	2058433786                      ; 0x7ab134fa
	.long	2101649235                      ; 0x7d449f53
	.long	220966013                       ; 0xd2bac7d
	.long	3445375335                      ; 0xcd5c4167
	.long	1100438514                      ; 0x41975bf2
	;; [unrolled: 1-line block ×5, first 2 shown]
	.long	150102478                       ; 0x8f261ce
	.long	3337395219                      ; 0xc6ec9c13
	.long	2464869101                      ; 0x92eaeaed
	;; [unrolled: 1-line block ×3, first 2 shown]
	.long	93353579                        ; 0x590766b
	.long	2329780067                      ; 0x8add9f63
	.long	777826834                       ; 0x2e5cb212
	.long	2745626035                      ; 0xa3a6edb3
	.long	2984812746                      ; 0xb1e8a0ca
	.long	568848158                       ; 0x21e7ef1e
	.long	1593919595                      ; 0x5f01486b
	.long	1166619196                      ; 0x4589323c
	.long	96177504                        ; 0x5bb8d60
	.long	305329591                       ; 0x1232f5b7
	.long	4271176854                      ; 0xfe94fc96
	.long	3829149188                      ; 0xe43c2e04
	.long	1551058535                      ; 0x5c734667
	.long	2828280993                      ; 0xa89424a1
	.long	1367551996                      ; 0x51832ffc
	.long	4208083082                      ; 0xfad2408a
	.long	2260803683                      ; 0x86c12063
	.long	3118708147                      ; 0xb9e3b5b3
	.long	434935608                       ; 0x19ec9738
	.long	702805370                       ; 0x29e3f57a
	.long	3544156958                      ; 0xd33f8b1e
	.long	792712531                       ; 0x2f3fd553
	.long	231019757                       ; 0xdc514ed
	;; [unrolled: 1-line block ×3, first 2 shown]
	.long	4049968615                      ; 0xf1659de7
	.long	2722527811                      ; 0xa2467a43
	.long	603697698                       ; 0x23fbb222
	.long	2891035509                      ; 0xac51b375
	.long	4270409302                      ; 0xfe894656
	;; [unrolled: 1-line block ×5, first 2 shown]
	.long	468729683                       ; 0x1bf03f53
	.long	2377913518                      ; 0x8dbc14ae
	.long	2068946556                      ; 0x7b519e7c
	.long	530579176                       ; 0x1f9ffee8
	.long	1422294615                      ; 0x54c67e57
	.long	4032799503                      ; 0xf05fa30f
	;; [unrolled: 1-line block ×3, first 2 shown]
	.long	604700228                       ; 0x240afe44
	.long	98049660                        ; 0x5d81e7c
	.long	3182511353                      ; 0xbdb144f9
	.long	935830212                       ; 0x37c7a2c4
	.long	1938107848                      ; 0x73852dc8
	.long	1266035034                      ; 0x4b76295a
	.long	957505506                       ; 0x39125fe2
	.long	2758220503                      ; 0xa4671ad7
	.long	1805223938                      ; 0x6b998802
	.long	3393041584                      ; 0xca3db4b0
	.long	3958541336                      ; 0xebf28c18
	.long	2695487012                      ; 0xa0a9de24
	.long	3355668819                      ; 0xc8037153
	.long	276889675                       ; 0x1081004b
	.long	3098939423                      ; 0xb8b6101f
	.long	415941187                       ; 0x18cac243
	.long	180737121                       ; 0xac5d461
	.long	2638873657                      ; 0x9d4a0439
	.long	1103150707                      ; 0x41c0be73
	;; [unrolled: 1-line block ×6, first 2 shown]
	.long	538129710                       ; 0x2013352e
	.long	3337005391                      ; 0xc6e6a94f
	.long	3941968393                      ; 0xeaf5aa09
	;; [unrolled: 1-line block ×5, first 2 shown]
	.long	296314749                       ; 0x11a9677d
	.long	1697642748                      ; 0x652ff8fc
	.long	3614403315                      ; 0xd76f6af3
	;; [unrolled: 1-line block ×8, first 2 shown]
	.long	886914072                       ; 0x34dd3c18
	.long	1884037075                      ; 0x704c1fd3
	.long	4135819784                      ; 0xf6839a08
	;; [unrolled: 1-line block ×9, first 2 shown]
	.long	165724720                       ; 0x9e0c230
	.long	2277165385                      ; 0x87bac949
	.long	1984963196                      ; 0x7650227c
	.long	1456923194                      ; 0x56d6e23a
	.long	2406217222                      ; 0x8f6bf606
	.long	3388886718                      ; 0xc9fe4ebe
	.long	47522558                        ; 0x2d522fe
	.long	1903557801                      ; 0x7175fca9
	.long	1959641458                      ; 0x74cdc172
	;; [unrolled: 1-line block ×9, first 2 shown]
	.long	601509698                       ; 0x23da4f42
	.long	3207357979                      ; 0xbf2c661b
	.long	1189285184                      ; 0x46e30d40
	.long	148538800                       ; 0x8da85b0
	.long	2077251302                      ; 0x7bd056e6
	.long	3267239327                      ; 0xc2be1d9f
	;; [unrolled: 1-line block ×8, first 2 shown]
	.long	536776894                       ; 0x1ffe90be
	.long	3742490940                      ; 0xdf11e13c
	.long	550084334                       ; 0x20c99eee
	.long	2441329856                      ; 0x9183bcc0
	.long	2604618499                      ; 0x9b3f5303
	;; [unrolled: 1-line block ×9, first 2 shown]
	.long	91750284                        ; 0x577ff8c
	.long	4290064840                      ; 0xffb531c8
	.long	3363597477                      ; 0xc87c6ca5
	.long	3243492274                      ; 0xc153c3b2
	.long	4271100308                      ; 0xfe93d194
	.long	4186328336                      ; 0xf9864d10
	.long	2291901989                      ; 0x889ba625
	.long	1834723222                      ; 0x6d5ba796
	.long	372220743                       ; 0x162fa347
	.long	2190417067                      ; 0x828f1cab
	.long	2624886324                      ; 0x9c749634
	;; [unrolled: 1-line block ×6, first 2 shown]
	.long	232820452                       ; 0xde08ee4
	.long	2714694382                      ; 0xa1cef2ee
	.long	3070258434                      ; 0xb7006d02
	;; [unrolled: 1-line block ×4, first 2 shown]
	.long	249083056                       ; 0xed8b4b0
	.long	4166379751                      ; 0xf855e8e7
	.long	1360927521                      ; 0x511e1b21
	;; [unrolled: 1-line block ×12, first 2 shown]
	.long	738357340                       ; 0x2c02705c
	.long	2597170030                      ; 0x9acdab6e
	.long	1689737432                      ; 0x64b758d8
	;; [unrolled: 1-line block ×7, first 2 shown]
	.long	938972594                       ; 0x37f795b2
	.long	2121583885                      ; 0x7e74cd0d
	.long	2208729114                      ; 0x83a6881a
	.long	276726877                       ; 0x107e845d
	.long	3973538591                      ; 0xecd7631f
	.long	2991069145                      ; 0xb24817d9
	;; [unrolled: 1-line block ×17, first 2 shown]
	.long	510431975                       ; 0x1e6c92e7
	.long	1014707294                      ; 0x3c7b345e
	.long	1378686477                      ; 0x522d160d
	;; [unrolled: 1-line block ×5, first 2 shown]
	.long	309274614                       ; 0x126f27f6
	.long	276596103                       ; 0x107c8587
	.long	3757624719                      ; 0xdff8cd8f
	.long	1212251468                      ; 0x48417d4c
	;; [unrolled: 1-line block ×12, first 2 shown]
	.long	331655838                       ; 0x13c4aa9e
	.long	326568491                       ; 0x13770a2b
	.long	1867863527                      ; 0x6f5555e7
	.long	1550945400                      ; 0x5c718c78
	;; [unrolled: 1-line block ×5, first 2 shown]
	.long	586483056                       ; 0x22f50570
	.long	147951307                       ; 0x8d18ecb
	;; [unrolled: 1-line block ×3, first 2 shown]
	.long	3823927166                      ; 0xe3ec7f7e
	.long	2789767841                      ; 0xa6487aa1
	;; [unrolled: 1-line block ×3, first 2 shown]
	.long	634238762                       ; 0x25cdb72a
	.long	4084629478                      ; 0xf3767fe6
	.long	3878778788                      ; 0xe73177a4
	.long	435990088                       ; 0x19fcae48
	.long	1724770389                      ; 0x66cde855
	.long	1403031256                      ; 0x53a08ed8
	;; [unrolled: 1-line block ×6, first 2 shown]
	.long	80675548                        ; 0x4cf02dc
	.long	1637232257                      ; 0x61962e81
	.long	1856565474                      ; 0x6ea8f0e2
	;; [unrolled: 1-line block ×9, first 2 shown]
	.long	278236392                       ; 0x10958ce8
	.long	1700614299                      ; 0x655d509b
	.long	2765246084                      ; 0xa4d24e84
	.long	3846866009                      ; 0xe54a8459
	.long	1220806787                      ; 0x48c40883
	.long	3655684157                      ; 0xd9e5503d
	.long	1133921183                      ; 0x4396439f
	.long	2779125219                      ; 0xa5a615e3
	.long	523552281                       ; 0x1f34c619
	.long	703813725                       ; 0x29f3585d
	.long	3110126767                      ; 0xb960c4af
	.long	823843890                       ; 0x311adc32
	.long	290243102                       ; 0x114cc21e
	;; [unrolled: 1-line block ×4, first 2 shown]
	.long	3381862130                      ; 0xc9931ef2
	.long	2305271841                      ; 0x8967a821
	.long	356059263                       ; 0x1539087f
	.long	2558018765                      ; 0x987844cd
	.long	3235968999                      ; 0xc0e0f7e7
	;; [unrolled: 1-line block ×16, first 2 shown]
	.long	536776894                       ; 0x1ffe90be
	.long	3742490940                      ; 0xdf11e13c
	.long	550084334                       ; 0x20c99eee
	.long	2441329856                      ; 0x9183bcc0
	.long	1909596092                      ; 0x71d21fbc
	;; [unrolled: 1-line block ×9, first 2 shown]
	.long	91750284                        ; 0x577ff8c
	.long	4290064840                      ; 0xffb531c8
	.long	803098068                       ; 0x2fde4dd4
	.long	3243492274                      ; 0xc153c3b2
	.long	4271100308                      ; 0xfe93d194
	;; [unrolled: 1-line block ×5, first 2 shown]
	.long	372220743                       ; 0x162fa347
	.long	2190417067                      ; 0x828f1cab
	.long	2624886324                      ; 0x9c749634
	;; [unrolled: 1-line block ×3, first 2 shown]
	.long	132569424                       ; 0x7e6d950
	.long	2278087682                      ; 0x87c8dc02
	.long	2461678432                      ; 0x92ba3b60
	.long	232820452                       ; 0xde08ee4
	.long	2714694382                      ; 0xa1cef2ee
	.long	3490648253                      ; 0xd00f10bd
	;; [unrolled: 1-line block ×4, first 2 shown]
	.long	249083056                       ; 0xed8b4b0
	.long	4166379751                      ; 0xf855e8e7
	.long	3503294711                      ; 0xd0d008f7
	;; [unrolled: 1-line block ×11, first 2 shown]
	.long	816420552                       ; 0x30a996c8
	.long	738357340                       ; 0x2c02705c
	.long	2597170030                      ; 0x9acdab6e
	.long	1689737432                      ; 0x64b758d8
	.long	2004663483                      ; 0x777cbcbb
	.long	397934907                       ; 0x17b8013b
	.long	1008175050                      ; 0x3c1787ca
	.long	2004702919                      ; 0x777d56c7
	;; [unrolled: 1-line block ×3, first 2 shown]
	.long	938972594                       ; 0x37f795b2
	.long	156733019                       ; 0x9578e5b
	.long	2208729114                      ; 0x83a6881a
	.long	276726877                       ; 0x107e845d
	.long	3973538591                      ; 0xecd7631f
	.long	2991069145                      ; 0xb24817d9
	;; [unrolled: 1-line block ×12, first 2 shown]
	.long	142464483                       ; 0x87dd5e3
	.long	3735508133                      ; 0xdea754a5
	.long	3421831326                      ; 0xcbf5009e
	;; [unrolled: 1-line block ×10, first 2 shown]
	.long	309274614                       ; 0x126f27f6
	.long	276596103                       ; 0x107c8587
	.long	3757624719                      ; 0xdff8cd8f
	.long	1212251468                      ; 0x48417d4c
	;; [unrolled: 1-line block ×7, first 2 shown]
	.long	880658361                       ; 0x347dc7b9
	.long	3775019657                      ; 0xe1023a89
	.long	2018542036                      ; 0x785081d4
	;; [unrolled: 1-line block ×4, first 2 shown]
	.long	839516623                       ; 0x320a01cf
	.long	326568491                       ; 0x13770a2b
	.long	1867863527                      ; 0x6f5555e7
	.long	1550945400                      ; 0x5c718c78
	;; [unrolled: 1-line block ×3, first 2 shown]
	.long	420309880                       ; 0x190d6b78
	.long	3949479453                      ; 0xeb68461d
	.long	586483056                       ; 0x22f50570
	.long	147951307                       ; 0x8d18ecb
	;; [unrolled: 1-line block ×4, first 2 shown]
	.long	2789767841                      ; 0xa6487aa1
	.long	3121654578                      ; 0xba10ab32
	.long	634238762                       ; 0x25cdb72a
	.long	4084629478                      ; 0xf3767fe6
	.long	1120413065                      ; 0x42c82589
	.long	435990088                       ; 0x19fcae48
	.long	1724770389                      ; 0x66cde855
	.long	1403031256                      ; 0x53a08ed8
	;; [unrolled: 1-line block ×3, first 2 shown]
	.long	240966420                       ; 0xe5cdb14
	.long	3288769545                      ; 0xc406a409
	.long	2793293893                      ; 0xa67e4845
	.long	80675548                        ; 0x4cf02dc
	.long	1637232257                      ; 0x61962e81
	.long	1785064235                      ; 0x6a65eb2b
	;; [unrolled: 1-line block ×9, first 2 shown]
	.long	278236392                       ; 0x10958ce8
	.long	1700614299                      ; 0x655d509b
	.long	2439624528                      ; 0x9169b750
	;; [unrolled: 1-line block ×6, first 2 shown]
	.long	366933679                       ; 0x15def6af
	.long	523552281                       ; 0x1f34c619
	;; [unrolled: 1-line block ×3, first 2 shown]
	.long	3110126767                      ; 0xb960c4af
	.long	823843890                       ; 0x311adc32
	.long	132468066                       ; 0x7e54d62
	;; [unrolled: 1-line block ×4, first 2 shown]
	.long	3381862130                      ; 0xc9931ef2
	.long	2305271841                      ; 0x8967a821
	;; [unrolled: 1-line block ×12, first 2 shown]
	.long	324524850                       ; 0x1357db32
	.long	4211583637                      ; 0xfb07aa95
	.long	2628162153                      ; 0x9ca69269
	;; [unrolled: 1-line block ×6, first 2 shown]
	.long	536776894                       ; 0x1ffe90be
	.long	3742490940                      ; 0xdf11e13c
	.long	550084334                       ; 0x20c99eee
	.long	2121458511                      ; 0x7e72e34f
	.long	1909596092                      ; 0x71d21fbc
	;; [unrolled: 1-line block ×9, first 2 shown]
	.long	91750284                        ; 0x577ff8c
	.long	1246148630                      ; 0x4a46b816
	.long	803098068                       ; 0x2fde4dd4
	.long	3243492274                      ; 0xc153c3b2
	.long	4271100308                      ; 0xfe93d194
	;; [unrolled: 1-line block ×5, first 2 shown]
	.long	372220743                       ; 0x162fa347
	.long	2190417067                      ; 0x828f1cab
	.long	2624886324                      ; 0x9c749634
	;; [unrolled: 1-line block ×3, first 2 shown]
	.long	132569424                       ; 0x7e6d950
	.long	2278087682                      ; 0x87c8dc02
	.long	2461678432                      ; 0x92ba3b60
	.long	232820452                       ; 0xde08ee4
	.long	3341915918                      ; 0xc731970e
	.long	3490648253                      ; 0xd00f10bd
	;; [unrolled: 1-line block ×4, first 2 shown]
	.long	249083056                       ; 0xed8b4b0
	.long	2307336284                      ; 0x8987285c
	.long	3503294711                      ; 0xd0d008f7
	.long	2247816079                      ; 0x85faf38f
	.long	3253689753                      ; 0xc1ef5d99
	.long	1563674427                      ; 0x5d33c73b
	.long	1717494311                      ; 0x665ee227
	.long	3121933565                      ; 0xba14ecfd
	.long	1067816947                      ; 0x3fa597f3
	.long	1098201917                      ; 0x41753b3d
	.long	4054175236                      ; 0xf1a5ce04
	.long	971917867                       ; 0x39ee4a2b
	.long	816420552                       ; 0x30a996c8
	;; [unrolled: 1-line block ×3, first 2 shown]
	.long	2597170030                      ; 0x9acdab6e
	.long	1689737432                      ; 0x64b758d8
	.long	243915062                       ; 0xe89d936
	.long	397934907                       ; 0x17b8013b
	.long	1008175050                      ; 0x3c1787ca
	.long	2004702919                      ; 0x777d56c7
	;; [unrolled: 1-line block ×4, first 2 shown]
	.long	156733019                       ; 0x9578e5b
	.long	2208729114                      ; 0x83a6881a
	.long	276726877                       ; 0x107e845d
	.long	3973538591                      ; 0xecd7631f
	.long	1909483753                      ; 0x71d068e9
	;; [unrolled: 1-line block ×11, first 2 shown]
	.long	462852932                       ; 0x1b969344
	.long	142464483                       ; 0x87dd5e3
	.long	3735508133                      ; 0xdea754a5
	.long	3421831326                      ; 0xcbf5009e
	;; [unrolled: 1-line block ×8, first 2 shown]
	.long	752503486                       ; 0x2cda4abe
	.long	4085776926                      ; 0xf388021e
	.long	309274614                       ; 0x126f27f6
	.long	276596103                       ; 0x107c8587
	.long	3757624719                      ; 0xdff8cd8f
	.long	4193030119                      ; 0xf9ec8fe7
	;; [unrolled: 1-line block ×7, first 2 shown]
	.long	880658361                       ; 0x347dc7b9
	.long	3775019657                      ; 0xe1023a89
	.long	2018542036                      ; 0x785081d4
	;; [unrolled: 1-line block ×4, first 2 shown]
	.long	839516623                       ; 0x320a01cf
	.long	326568491                       ; 0x13770a2b
	.long	1867863527                      ; 0x6f5555e7
	.long	1550945400                      ; 0x5c718c78
	;; [unrolled: 1-line block ×3, first 2 shown]
	.long	420309880                       ; 0x190d6b78
	.long	3949479453                      ; 0xeb68461d
	.long	586483056                       ; 0x22f50570
	.long	147951307                       ; 0x8d18ecb
	.long	1639139280                      ; 0x61b347d0
	.long	416618471                       ; 0x18d517e7
	.long	2789767841                      ; 0xa6487aa1
	.long	3121654578                      ; 0xba10ab32
	.long	634238762                       ; 0x25cdb72a
	.long	3622035469                      ; 0xd7e3e00d
	;; [unrolled: 3-line block ×3, first 2 shown]
	.long	1403031256                      ; 0x53a08ed8
	.long	3548817929                      ; 0xd386aa09
	.long	240966420                       ; 0xe5cdb14
	.long	3288769545                      ; 0xc406a409
	.long	2793293893                      ; 0xa67e4845
	.long	80675548                        ; 0x4cf02dc
	.long	3119506726                      ; 0xb9efe526
	.long	1785064235                      ; 0x6a65eb2b
	;; [unrolled: 1-line block ×9, first 2 shown]
	.long	278236392                       ; 0x10958ce8
	.long	3487875111                      ; 0xcfe4c027
	.long	2439624528                      ; 0x9169b750
	;; [unrolled: 1-line block ×6, first 2 shown]
	.long	366933679                       ; 0x15def6af
	.long	523552281                       ; 0x1f34c619
	.long	703813725                       ; 0x29f3585d
	.long	3110126767                      ; 0xb960c4af
	.long	2477354049                      ; 0x93a96c41
	.long	132468066                       ; 0x7e54d62
	.long	821297176                       ; 0x30f40018
	;; [unrolled: 1-line block ×3, first 2 shown]
	.long	3381862130                      ; 0xc9931ef2
	.long	4065162466                      ; 0xf24d74e2
	;; [unrolled: 1-line block ×6, first 2 shown]
	.long	191819556                       ; 0xb6eef24
	.long	1699430013                      ; 0x654b3e7d
	.long	4275517214                      ; 0xfed7371e
	.long	4035198865                      ; 0xf0843f91
	.long	3339014315                      ; 0xc70550ab
	.long	3588518026                      ; 0xd5e4708a
	.long	324524850                       ; 0x1357db32
	.long	4211583637                      ; 0xfb07aa95
	.long	2628162153                      ; 0x9ca69269
	;; [unrolled: 1-line block ×6, first 2 shown]
	.long	536776894                       ; 0x1ffe90be
	.long	3742490940                      ; 0xdf11e13c
	.long	3912424229                      ; 0xe932db25
	;; [unrolled: 1-line block ×13, first 2 shown]
	.long	803098068                       ; 0x2fde4dd4
	.long	3243492274                      ; 0xc153c3b2
	.long	4271100308                      ; 0xfe93d194
	.long	402141998                       ; 0x17f8332e
	.long	2932236493                      ; 0xaec660cd
	.long	2575673198                      ; 0x9985a76e
	;; [unrolled: 3-line block ×3, first 2 shown]
	.long	3945294599                      ; 0xeb286b07
	.long	132569424                       ; 0x7e6d950
	.long	2278087682                      ; 0x87c8dc02
	.long	2461678432                      ; 0x92ba3b60
	.long	708189294                       ; 0x2a361c6e
	.long	3341915918                      ; 0xc731970e
	.long	3490648253                      ; 0xd00f10bd
	;; [unrolled: 1-line block ×15, first 2 shown]
	.long	971917867                       ; 0x39ee4a2b
	.long	816420552                       ; 0x30a996c8
	;; [unrolled: 1-line block ×3, first 2 shown]
	.long	2597170030                      ; 0x9acdab6e
	.long	2306273930                      ; 0x8976f28a
	.long	243915062                       ; 0xe89d936
	.long	397934907                       ; 0x17b8013b
	.long	1008175050                      ; 0x3c1787ca
	.long	2004702919                      ; 0x777d56c7
	;; [unrolled: 1-line block ×4, first 2 shown]
	.long	156733019                       ; 0x9578e5b
	.long	2208729114                      ; 0x83a6881a
	.long	276726877                       ; 0x107e845d
	.long	2452083872                      ; 0x9227d4a0
	.long	1909483753                      ; 0x71d068e9
	.long	2470446383                      ; 0x9340052f
	.long	2980162173                      ; 0xb1a1aa7d
	.long	1915611444                      ; 0x722de934
	.long	2043489400                      ; 0x79cd2c78
	.long	3454651559                      ; 0xcde9cca7
	.long	3265195583                      ; 0xc29eee3f
	.long	2640563452                      ; 0x9d63ccfc
	.long	2680619359                      ; 0x9fc7015f
	.long	2845757473                      ; 0xa99ed021
	.long	462852932                       ; 0x1b969344
	.long	142464483                       ; 0x87dd5e3
	.long	3735508133                      ; 0xdea754a5
	.long	3421831326                      ; 0xcbf5009e
	.long	25103542                        ; 0x17f0cb6
	.long	1372088341                      ; 0x51c86815
	.long	1898668265                      ; 0x712b60e9
	;; [unrolled: 1-line block ×5, first 2 shown]
	.long	752503486                       ; 0x2cda4abe
	.long	4085776926                      ; 0xf388021e
	.long	309274614                       ; 0x126f27f6
	.long	276596103                       ; 0x107c8587
	.long	3663266970                      ; 0xda59049a
	.long	4193030119                      ; 0xf9ec8fe7
	;; [unrolled: 1-line block ×5, first 2 shown]
	.long	453005903                       ; 0x1b00524f
	.long	1725105892                      ; 0x66d306e4
	.long	880658361                       ; 0x347dc7b9
	.long	3775019657                      ; 0xe1023a89
	.long	2018542036                      ; 0x785081d4
	;; [unrolled: 1-line block ×4, first 2 shown]
	.long	839516623                       ; 0x320a01cf
	.long	326568491                       ; 0x13770a2b
	.long	1867863527                      ; 0x6f5555e7
	.long	3474340574                      ; 0xcf163ade
	;; [unrolled: 1-line block ×3, first 2 shown]
	.long	420309880                       ; 0x190d6b78
	.long	3949479453                      ; 0xeb68461d
	.long	586483056                       ; 0x22f50570
	.long	297934218                       ; 0x11c21d8a
	.long	1639139280                      ; 0x61b347d0
	.long	416618471                       ; 0x18d517e7
	.long	2789767841                      ; 0xa6487aa1
	.long	3121654578                      ; 0xba10ab32
	.long	958889718                       ; 0x39277ef6
	.long	3622035469                      ; 0xd7e3e00d
	;; [unrolled: 3-line block ×3, first 2 shown]
	.long	2589603756                      ; 0x9a5a37ac
	.long	3548817929                      ; 0xd386aa09
	.long	240966420                       ; 0xe5cdb14
	.long	3288769545                      ; 0xc406a409
	.long	2793293893                      ; 0xa67e4845
	.long	972899860                       ; 0x39fd4614
	.long	3119506726                      ; 0xb9efe526
	.long	1785064235                      ; 0x6a65eb2b
	;; [unrolled: 1-line block ×9, first 2 shown]
	.long	159345352                       ; 0x97f6ac8
	.long	3487875111                      ; 0xcfe4c027
	.long	2439624528                      ; 0x9169b750
	;; [unrolled: 1-line block ×6, first 2 shown]
	.long	366933679                       ; 0x15def6af
	.long	523552281                       ; 0x1f34c619
	.long	703813725                       ; 0x29f3585d
	.long	1717395617                      ; 0x665d60a1
	.long	2477354049                      ; 0x93a96c41
	.long	132468066                       ; 0x7e54d62
	.long	821297176                       ; 0x30f40018
	;; [unrolled: 1-line block ×3, first 2 shown]
	.long	1088290332                      ; 0x40ddfe1c
	.long	4065162466                      ; 0xf24d74e2
	;; [unrolled: 1-line block ×5, first 2 shown]
	.long	285340039                       ; 0x1101f187
	.long	191819556                       ; 0xb6eef24
	.long	1699430013                      ; 0x654b3e7d
	.long	4275517214                      ; 0xfed7371e
	;; [unrolled: 1-line block ×4, first 2 shown]
	.long	285121978                       ; 0x10fe9dba
	.long	1175302919                      ; 0x460db307
	.long	4101282768                      ; 0xf4749bd0
	.long	513236580                       ; 0x1e975e64
	.long	890655666                       ; 0x351653b2
	.long	3051849972                      ; 0xb5e788f4
	.long	2315486379                      ; 0x8a0384ab
	;; [unrolled: 1-line block ×6, first 2 shown]
	.long	461387883                       ; 0x1b80386b
	.long	770459119                       ; 0x2dec45ef
	.long	3121636621                      ; 0xba10650d
	.long	1243065093                      ; 0x4a17ab05
	;; [unrolled: 1-line block ×3, first 2 shown]
	.long	659033930                       ; 0x27480f4a
	.long	621176955                       ; 0x2506687b
	;; [unrolled: 1-line block ×4, first 2 shown]
	.long	1168438671                      ; 0x45a4f58f
	.long	1233027650                      ; 0x497e8242
	;; [unrolled: 1-line block ×3, first 2 shown]
	.long	659404177                       ; 0x274db591
	.long	1218841419                      ; 0x48a60b4b
	.long	1226193512                      ; 0x49163a68
	;; [unrolled: 1-line block ×3, first 2 shown]
	.long	334814687                       ; 0x13f4dddf
	.long	980422670                       ; 0x3a70100e
	.long	2518384561                      ; 0x961b7fb1
	.long	4041002302                      ; 0xf0dccd3e
	;; [unrolled: 1-line block ×3, first 2 shown]
	.long	509643440                       ; 0x1e608ab0
	.long	2528499450                      ; 0x96b5d6fa
	.long	1512213710                      ; 0x5a228cce
	;; [unrolled: 1-line block ×6, first 2 shown]
	.long	463383787                       ; 0x1b9eaceb
	.long	1184681947                      ; 0x469ccfdb
	.long	283482187                       ; 0x10e5984b
	.long	2421891582                      ; 0x905b21fe
	.long	3200080903                      ; 0xbebd5c07
	.long	373817869                       ; 0x1648020d
	.long	452807139                       ; 0x1afd49e3
	.long	2002545143                      ; 0x775c69f7
	.long	1068199574                      ; 0x3fab6e96
	;; [unrolled: 1-line block ×3, first 2 shown]
	.long	377559317                       ; 0x16811915
	.long	1548403713                      ; 0x5c4ac401
	.long	1580741080                      ; 0x5e3831d8
	.long	253591624                       ; 0xf1d8048
	.long	759280679                       ; 0x2d41b427
	.long	2174360733                      ; 0x819a1c9d
	.long	1687952097                      ; 0x649c1ae1
	;; [unrolled: 1-line block ×4, first 2 shown]
	.long	652218568                       ; 0x26e010c8
	.long	4130230594                      ; 0xf62e5142
	.long	3757998028                      ; 0xdffe7fcc
	;; [unrolled: 1-line block ×4, first 2 shown]
	.long	229741978                       ; 0xdb1959a
	.long	1900794007                      ; 0x714bd097
	.long	201310771                       ; 0xbffc233
	.long	4075023260                      ; 0xf2e3eb9c
	.long	3390078853                      ; 0xca107f85
	.long	3572716207                      ; 0xd4f352af
	.long	1959949436                      ; 0x74d2747c
	.long	1000128498                      ; 0x3b9cbff2
	.long	1636575064                      ; 0x618c2758
	.long	241058867                       ; 0xe5e4433
	.long	2075461870                      ; 0x7bb508ee
	.long	1819342070                      ; 0x6c70f4f6
	.long	619233032                       ; 0x24e8bf08
	.long	3164328001                      ; 0xbc9bd041
	.long	4280892071                      ; 0xff293aa7
	.long	4219074185                      ; 0xfb79f689
	.long	2719764611                      ; 0xa21c5083
	.long	3827656652                      ; 0xe42567cc
	.long	4062556527                      ; 0xf225b16f
	.long	621515766                       ; 0x250b93f6
	.long	2542375627                      ; 0x978992cb
	.long	3901998596                      ; 0xe893c604
	.long	2295087430                      ; 0x88cc4146
	.long	2880672054                      ; 0xabb39136
	;; [unrolled: 7-line block ×3, first 2 shown]
	.long	3775306719                      ; 0xe1069bdf
	.long	2212887565                      ; 0x83e5fc0d
	;; [unrolled: 1-line block ×11, first 2 shown]
	.long	262511310                       ; 0xfa59ace
	.long	4151907455                      ; 0xf779147f
	.long	924716723                       ; 0x371e0eb3
	.long	3298769960                      ; 0xc49f3c28
	.long	2065938273                      ; 0x7b23b761
	;; [unrolled: 1-line block ×3, first 2 shown]
	.long	122636766                       ; 0x74f49de
	.long	2164055077                      ; 0x80fcdc25
	.long	1000638739                      ; 0x3ba48913
	;; [unrolled: 1-line block ×8, first 2 shown]
	.long	832931652                       ; 0x31a58744
	.long	452359900                       ; 0x1af676dc
	;; [unrolled: 1-line block ×3, first 2 shown]
	.long	3312648046                      ; 0xc572ff6e
	.long	1059435047                      ; 0x3f25b227
	;; [unrolled: 1-line block ×4, first 2 shown]
	.long	417952902                       ; 0x18e97486
	.long	731020350                       ; 0x2b927c3e
	.long	2847472725                      ; 0xa9b8fc55
	.long	2779076784                      ; 0xa5a558b0
	;; [unrolled: 1-line block ×3, first 2 shown]
	.long	487600023                       ; 0x1d102f97
	.long	2925909449                      ; 0xae65d5c9
	.long	3997011591                      ; 0xee3d8e87
	;; [unrolled: 1-line block ×3, first 2 shown]
	.long	967300591                       ; 0x39a7d5ef
	.long	2310856069                      ; 0x89bcdd85
	.long	684710043                       ; 0x28cfd89b
	.long	811911286                       ; 0x3064c876
	.long	4174732177                      ; 0xf8d55b91
	.long	1010656728                      ; 0x3c3d65d8
	.long	702780279                       ; 0x29e39377
	.long	920081774                       ; 0x36d7556e
	.long	1578296057                      ; 0x5e12e2f9
	.long	944734808                       ; 0x384f8258
	.long	2884038169                      ; 0xabe6ee19
	.long	2885919611                      ; 0xac03a37b
	;; [unrolled: 1-line block ×5, first 2 shown]
	.long	656143887                       ; 0x271bf60f
	.long	426108406                       ; 0x1965e5f6
	.long	2166202683                      ; 0x811da13b
	.long	991797657                       ; 0x3b1da199
	.long	706498590                       ; 0x2a1c501e
	;; [unrolled: 1-line block ×3, first 2 shown]
	.long	1144619335                      ; 0x44398147
	.long	3136206425                      ; 0xbaeeb659
	;; [unrolled: 1-line block ×3, first 2 shown]
	.long	651444872                       ; 0x26d44288
	.long	2348224675                      ; 0x8bf710a3
	.long	1684848433                      ; 0x646cbf31
	;; [unrolled: 1-line block ×14, first 2 shown]
	.long	637811069                       ; 0x2604397d
	.long	12802085                        ; 0xc35825
	.long	3456408080                      ; 0xce049a10
	.long	166617386                       ; 0x9ee612a
	.long	1764224523                      ; 0x6927ee0b
	.long	4016338923                      ; 0xef6477eb
	;; [unrolled: 1-line block ×5, first 2 shown]
	.long	373730087                       ; 0x1646ab27
	.long	3013524828                      ; 0xb39ebd5c
	.long	242949418                       ; 0xe7b1d2a
	.long	3443491410                      ; 0xcd3f8252
	.long	3671816408                      ; 0xdadb78d8
	;; [unrolled: 1-line block ×4, first 2 shown]
	.long	716535366                       ; 0x2ab57646
	.long	1884597979                      ; 0x7054aedb
	.long	3917515811                      ; 0xe9808c23
	.long	3441985401                      ; 0xcd288779
	.long	2472173593                      ; 0x935a6019
	.long	4034695117                      ; 0xf07c8fcd
	.long	2486526143                      ; 0x943560bf
	.long	1658764329                      ; 0x62debc29
	.long	1873516415                      ; 0x6fab977f
	.long	884116165                       ; 0x34b28ac5
	.long	814992460                       ; 0x3093cc4c
	.long	1069506245                      ; 0x3fbf5ec5
	.long	3797556389                      ; 0xe25a1ca5
	.long	838088473                       ; 0x31f43719
	.long	2279863068                      ; 0x87e3f31c
	.long	1002637017                      ; 0x3bc306d9
	;; [unrolled: 1-line block ×3, first 2 shown]
	.long	644478743                       ; 0x2669f717
	.long	4138151954                      ; 0xf6a73012
	.long	4030442072                      ; 0xf03baa58
	.long	297710349                       ; 0x11beb30d
	.long	3507828614                      ; 0xd1153786
	.long	1403493362                      ; 0x53a79bf2
	.long	3132267322                      ; 0xbab29b3a
	.long	227377796                       ; 0xd8d8284
	.long	388148240                       ; 0x1722ac10
	.long	2760904473                      ; 0xa4900f19
	.long	352998924                       ; 0x150a560c
	.long	1603734504                      ; 0x5f970be8
	.long	1528807885                      ; 0x5b1fc1cd
	;; [unrolled: 1-line block ×3, first 2 shown]
	.long	737730350                       ; 0x2bf8df2e
	.long	2761342715                      ; 0xa496befb
	.long	809367801                       ; 0x303df8f9
	.long	1667936422                      ; 0x636ab0a6
	.long	1510238771                      ; 0x5a046a33
	;; [unrolled: 1-line block ×4, first 2 shown]
	.long	647580587                       ; 0x26994bab
	.long	1460988169                      ; 0x5714e909
	.long	3944640945                      ; 0xeb1e71b1
	;; [unrolled: 1-line block ×10, first 2 shown]
	.long	692294537                       ; 0x29439389
	.long	3148362914                      ; 0xbba834a2
	.long	3371415765                      ; 0xc8f3b8d5
	;; [unrolled: 1-line block ×3, first 2 shown]
	.long	706771848                       ; 0x2a207b88
	.long	3734467362                      ; 0xde977322
	.long	2768750385                      ; 0xa507c731
	;; [unrolled: 1-line block ×6, first 2 shown]
	.long	592595530                       ; 0x23524a4a
	.long	1685341001                      ; 0x64744349
	.long	3352323357                      ; 0xc7d0651d
	;; [unrolled: 1-line block ×8, first 2 shown]
	.long	565106475                       ; 0x21aed72b
	.long	327014810                       ; 0x137dd99a
	;; [unrolled: 1-line block ×3, first 2 shown]
	.long	3262918351                      ; 0xc27c2ecf
	.long	915509292                       ; 0x3691902c
	.long	397356303                       ; 0x17af2d0f
	.long	3248246752                      ; 0xc19c4fe0
	.long	1122821778                      ; 0x42ece692
	.long	2373765260                      ; 0x8d7cc88c
	.long	1795464380                      ; 0x6b049cbc
	.long	3485315196                      ; 0xcfbdb07c
	.long	1731529670                      ; 0x67350bc6
	.long	86888382                        ; 0x52dcfbe
	.long	2789587372                      ; 0xa645b9ac
	.long	850847993                       ; 0x32b6e8f9
	.long	1794523220                      ; 0x6af64054
	.long	577288126                       ; 0x2268b7be
	;; [unrolled: 2-line block ×3, first 2 shown]
	.long	2601642298                      ; 0x9b11e93a
	.long	1469035973                      ; 0x578fb5c5
	;; [unrolled: 1-line block ×4, first 2 shown]
	.long	633292505                       ; 0x25bf46d9
	.long	756260381                       ; 0x2d139e1d
	.long	41782389                        ; 0x27d8c75
	.long	226724724                       ; 0xd838b74
	.long	3633968708                      ; 0xd899f644
	.long	1695315503                      ; 0x650c762f
	;; [unrolled: 1-line block ×4, first 2 shown]
	.long	823108172                       ; 0x310fa24c
	.long	3609336496                      ; 0xd7221ab0
	.long	3422558797                      ; 0xcc001a4d
	.long	2865413534                      ; 0xaacabd9e
	.long	564221408                       ; 0x21a155e0
	.long	591845835                       ; 0x2346d9cb
	.long	2498463433                      ; 0x94eb86c9
	.long	3573926554                      ; 0xd505ca9a
	;; [unrolled: 1-line block ×8, first 2 shown]
	.long	56968669                        ; 0x36545dd
	.long	1234765864                      ; 0x49990828
	.long	2456093821                      ; 0x9265047d
	;; [unrolled: 1-line block ×6, first 2 shown]
	.long	628000231                       ; 0x256e85e7
	.long	745509757                       ; 0x2c6f937d
	.long	4143543278                      ; 0xf6f973ee
	.long	1941480444                      ; 0x73b8a3fc
	;; [unrolled: 1-line block ×7, first 2 shown]
	.long	651444872                       ; 0x26d44288
	.long	2348224675                      ; 0x8bf710a3
	.long	1684848433                      ; 0x646cbf31
	;; [unrolled: 1-line block ×12, first 2 shown]
	.long	461466951                       ; 0x1b816d47
	.long	1313208797                      ; 0x4e45f9dd
	.long	637811069                       ; 0x2604397d
	.long	12802085                        ; 0xc35825
	.long	3456408080                      ; 0xce049a10
	.long	3444149988                      ; 0xcd498ee4
	;; [unrolled: 1-line block ×7, first 2 shown]
	.long	373730087                       ; 0x1646ab27
	.long	3013524828                      ; 0xb39ebd5c
	.long	242949418                       ; 0xe7b1d2a
	.long	3443491410                      ; 0xcd3f8252
	.long	2740782133                      ; 0xa35d0435
	;; [unrolled: 1-line block ×4, first 2 shown]
	.long	716535366                       ; 0x2ab57646
	.long	1884597979                      ; 0x7054aedb
	.long	3161911677                      ; 0xbc76f17d
	;; [unrolled: 1-line block ×8, first 2 shown]
	.long	884116165                       ; 0x34b28ac5
	.long	814992460                       ; 0x3093cc4c
	.long	1069506245                      ; 0x3fbf5ec5
	.long	1053106195                      ; 0x3ec52013
	.long	838088473                       ; 0x31f43719
	.long	2279863068                      ; 0x87e3f31c
	.long	1002637017                      ; 0x3bc306d9
	;; [unrolled: 1-line block ×6, first 2 shown]
	.long	297710349                       ; 0x11beb30d
	.long	3507828614                      ; 0xd1153786
	.long	2328331779                      ; 0x8ac78603
	.long	3132267322                      ; 0xbab29b3a
	.long	227377796                       ; 0xd8d8284
	.long	388148240                       ; 0x1722ac10
	.long	2760904473                      ; 0xa4900f19
	.long	3654577129                      ; 0xd9d46be9
	;; [unrolled: 1-line block ×5, first 2 shown]
	.long	737730350                       ; 0x2bf8df2e
	.long	2134741424                      ; 0x7f3d91b0
	.long	809367801                       ; 0x303df8f9
	.long	1667936422                      ; 0x636ab0a6
	.long	1510238771                      ; 0x5a046a33
	;; [unrolled: 1-line block ×4, first 2 shown]
	.long	647580587                       ; 0x26994bab
	.long	1460988169                      ; 0x5714e909
	.long	3944640945                      ; 0xeb1e71b1
	;; [unrolled: 1-line block ×10, first 2 shown]
	.long	692294537                       ; 0x29439389
	.long	3148362914                      ; 0xbba834a2
	.long	3371415765                      ; 0xc8f3b8d5
	;; [unrolled: 1-line block ×3, first 2 shown]
	.long	706771848                       ; 0x2a207b88
	.long	3734467362                      ; 0xde977322
	.long	2768750385                      ; 0xa507c731
	;; [unrolled: 1-line block ×6, first 2 shown]
	.long	592595530                       ; 0x23524a4a
	.long	1685341001                      ; 0x64744349
	.long	3121493408                      ; 0xba0e35a0
	;; [unrolled: 1-line block ×8, first 2 shown]
	.long	565106475                       ; 0x21aed72b
	.long	327014810                       ; 0x137dd99a
	;; [unrolled: 1-line block ×3, first 2 shown]
	.long	1278935671                      ; 0x4c3b0277
	.long	915509292                       ; 0x3691902c
	.long	397356303                       ; 0x17af2d0f
	.long	3248246752                      ; 0xc19c4fe0
	.long	1122821778                      ; 0x42ece692
	;; [unrolled: 1-line block ×6, first 2 shown]
	.long	86888382                        ; 0x52dcfbe
	.long	3645735256                      ; 0xd94d8158
	.long	850847993                       ; 0x32b6e8f9
	.long	1794523220                      ; 0x6af64054
	.long	577288126                       ; 0x2268b7be
	.long	1996569530                      ; 0x77013bba
	.long	1126950                         ; 0x113226
	.long	2601642298                      ; 0x9b11e93a
	.long	1469035973                      ; 0x578fb5c5
	;; [unrolled: 1-line block ×5, first 2 shown]
	.long	756260381                       ; 0x2d139e1d
	.long	41782389                        ; 0x27d8c75
	.long	226724724                       ; 0xd838b74
	.long	3633968708                      ; 0xd899f644
	.long	738274780                       ; 0x2c012ddc
	.long	1846857904                      ; 0x6e14d0b0
	.long	3185630605                      ; 0xbde0dd8d
	.long	823108172                       ; 0x310fa24c
	.long	3609336496                      ; 0xd7221ab0
	.long	3371270228                      ; 0xc8f18054
	;; [unrolled: 1-line block ×3, first 2 shown]
	.long	564221408                       ; 0x21a155e0
	.long	591845835                       ; 0x2346d9cb
	.long	2498463433                      ; 0x94eb86c9
	.long	4157618574                      ; 0xf7d0398e
	;; [unrolled: 1-line block ×8, first 2 shown]
	.long	56968669                        ; 0x36545dd
	.long	1234765864                      ; 0x49990828
	.long	2456093821                      ; 0x9265047d
	;; [unrolled: 1-line block ×6, first 2 shown]
	.long	628000231                       ; 0x256e85e7
	.long	541676954                       ; 0x2049559a
	.long	4143543278                      ; 0xf6f973ee
	.long	1941480444                      ; 0x73b8a3fc
	;; [unrolled: 1-line block ×7, first 2 shown]
	.long	651444872                       ; 0x26d44288
	.long	2348224675                      ; 0x8bf710a3
	.long	47991343                        ; 0x2dc4a2f
	.long	3748890341                      ; 0xdf7386e5
	.long	3413467790                      ; 0xcb75628e
	;; [unrolled: 1-line block ×10, first 2 shown]
	.long	461466951                       ; 0x1b816d47
	.long	1313208797                      ; 0x4e45f9dd
	.long	637811069                       ; 0x2604397d
	.long	12802085                        ; 0xc35825
	.long	982676468                       ; 0x3a9273f4
	.long	3444149988                      ; 0xcd498ee4
	.long	1764224523                      ; 0x6927ee0b
	;; [unrolled: 1-line block ×4, first 2 shown]
	.long	451503008                       ; 0x1ae963a0
	.long	2594402002                      ; 0x9aa36ed2
	.long	373730087                       ; 0x1646ab27
	.long	3013524828                      ; 0xb39ebd5c
	;; [unrolled: 2-line block ×3, first 2 shown]
	.long	2740782133                      ; 0xa35d0435
	.long	2391000148                      ; 0x8e83c454
	;; [unrolled: 1-line block ×3, first 2 shown]
	.long	716535366                       ; 0x2ab57646
	.long	731470002                       ; 0x2b9958b2
	.long	3161911677                      ; 0xbc76f17d
	.long	3441985401                      ; 0xcd288779
	;; [unrolled: 1-line block ×4, first 2 shown]
	.long	44456710                        ; 0x2a65b06
	.long	3623045141                      ; 0xd7f34815
	.long	1873516415                      ; 0x6fab977f
	.long	884116165                       ; 0x34b28ac5
	.long	814992460                       ; 0x3093cc4c
	.long	4004771121                      ; 0xeeb3f531
	.long	1053106195                      ; 0x3ec52013
	.long	838088473                       ; 0x31f43719
	.long	2279863068                      ; 0x87e3f31c
	.long	1002637017                      ; 0x3bc306d9
	;; [unrolled: 1-line block ×6, first 2 shown]
	.long	297710349                       ; 0x11beb30d
	.long	2570695340                      ; 0x9939b2ac
	.long	2328331779                      ; 0x8ac78603
	;; [unrolled: 1-line block ×3, first 2 shown]
	.long	227377796                       ; 0xd8d8284
	.long	388148240                       ; 0x1722ac10
	.long	3570998746                      ; 0xd4d91dda
	.long	3654577129                      ; 0xd9d46be9
	;; [unrolled: 1-line block ×5, first 2 shown]
	.long	188017185                       ; 0xb34ea21
	.long	2134741424                      ; 0x7f3d91b0
	.long	809367801                       ; 0x303df8f9
	.long	1667936422                      ; 0x636ab0a6
	.long	1510238771                      ; 0x5a046a33
	;; [unrolled: 1-line block ×4, first 2 shown]
	.long	647580587                       ; 0x26994bab
	.long	1460988169                      ; 0x5714e909
	.long	3944640945                      ; 0xeb1e71b1
	;; [unrolled: 1-line block ×10, first 2 shown]
	.long	692294537                       ; 0x29439389
	.long	3148362914                      ; 0xbba834a2
	.long	1645995464                      ; 0x621be5c8
	;; [unrolled: 1-line block ×3, first 2 shown]
	.long	706771848                       ; 0x2a207b88
	.long	3734467362                      ; 0xde977322
	.long	2768750385                      ; 0xa507c731
	.long	670964862                       ; 0x27fe1c7e
	.long	1337146928                      ; 0x4fb33e30
	.long	1449841372                      ; 0x566ad2dc
	;; [unrolled: 1-line block ×3, first 2 shown]
	.long	592595530                       ; 0x23524a4a
	.long	4204421245                      ; 0xfa9a607d
	.long	3121493408                      ; 0xba0e35a0
	;; [unrolled: 1-line block ×8, first 2 shown]
	.long	565106475                       ; 0x21aed72b
	.long	327014810                       ; 0x137dd99a
	.long	2716443687                      ; 0xa1e9a427
	.long	1278935671                      ; 0x4c3b0277
	.long	915509292                       ; 0x3691902c
	.long	397356303                       ; 0x17af2d0f
	.long	3248246752                      ; 0xc19c4fe0
	.long	204830047                       ; 0xc35755f
	.long	1086107506                      ; 0x40bcaf72
	.long	1795464380                      ; 0x6b049cbc
	;; [unrolled: 1-line block ×4, first 2 shown]
	.long	662578255                       ; 0x277e244f
	.long	3645735256                      ; 0xd94d8158
	.long	850847993                       ; 0x32b6e8f9
	.long	1794523220                      ; 0x6af64054
	;; [unrolled: 2-line block ×3, first 2 shown]
	.long	1126950                         ; 0x113226
	.long	2601642298                      ; 0x9b11e93a
	.long	1469035973                      ; 0x578fb5c5
	;; [unrolled: 1-line block ×3, first 2 shown]
	.long	92392213                        ; 0x581cb15
	.long	3668777652                      ; 0xdaad1ab4
	.long	756260381                       ; 0x2d139e1d
	.long	41782389                        ; 0x27d8c75
	.long	226724724                       ; 0xd838b74
	.long	1123105466                      ; 0x42f13aba
	.long	738274780                       ; 0x2c012ddc
	.long	1846857904                      ; 0x6e14d0b0
	.long	3185630605                      ; 0xbde0dd8d
	.long	823108172                       ; 0x310fa24c
	.long	2880110296                      ; 0xabaafed8
	.long	3371270228                      ; 0xc8f18054
	;; [unrolled: 1-line block ×3, first 2 shown]
	.long	564221408                       ; 0x21a155e0
	.long	591845835                       ; 0x2346d9cb
	.long	2356214088                      ; 0x8c70f948
	.long	4157618574                      ; 0xf7d0398e
	;; [unrolled: 1-line block ×8, first 2 shown]
	.long	56968669                        ; 0x36545dd
	.long	1234765864                      ; 0x49990828
	.long	3166457679                      ; 0xbcbc4f4f
	;; [unrolled: 1-line block ×6, first 2 shown]
	.long	496099322                       ; 0x1d91dffa
	.long	541676954                       ; 0x2049559a
	.long	4143543278                      ; 0xf6f973ee
	.long	1941480444                      ; 0x73b8a3fc
	;; [unrolled: 1-line block ×7, first 2 shown]
	.long	651444872                       ; 0x26d44288
	.long	1131603264                      ; 0x4372e540
	.long	47991343                        ; 0x2dc4a2f
	.long	3748890341                      ; 0xdf7386e5
	.long	3413467790                      ; 0xcb75628e
	;; [unrolled: 1-line block ×10, first 2 shown]
	.long	461466951                       ; 0x1b816d47
	.long	1313208797                      ; 0x4e45f9dd
	.long	637811069                       ; 0x2604397d
	.long	2744898822                      ; 0xa39bd506
	;; [unrolled: 2-line block ×3, first 2 shown]
	.long	1764224523                      ; 0x6927ee0b
	.long	4016338923                      ; 0xef6477eb
	;; [unrolled: 1-line block ×3, first 2 shown]
	.long	451503008                       ; 0x1ae963a0
	.long	2594402002                      ; 0x9aa36ed2
	.long	373730087                       ; 0x1646ab27
	.long	3013524828                      ; 0xb39ebd5c
	.long	3442521115                      ; 0xcd30b41b
	;; [unrolled: 1-line block ×7, first 2 shown]
	.long	731470002                       ; 0x2b9958b2
	.long	3161911677                      ; 0xbc76f17d
	.long	3441985401                      ; 0xcd288779
	;; [unrolled: 1-line block ×4, first 2 shown]
	.long	44456710                        ; 0x2a65b06
	.long	3623045141                      ; 0xd7f34815
	.long	1873516415                      ; 0x6fab977f
	.long	884116165                       ; 0x34b28ac5
	.long	2550700713                      ; 0x98089aa9
	.long	4004771121                      ; 0xeeb3f531
	.long	1053106195                      ; 0x3ec52013
	.long	838088473                       ; 0x31f43719
	.long	2279863068                      ; 0x87e3f31c
	.long	1296332348                      ; 0x4d44763c
	;; [unrolled: 1-line block ×10, first 2 shown]
	.long	227377796                       ; 0xd8d8284
	.long	3887816270                      ; 0xe7bb5e4e
	.long	3570998746                      ; 0xd4d91dda
	;; [unrolled: 1-line block ×6, first 2 shown]
	.long	188017185                       ; 0xb34ea21
	.long	2134741424                      ; 0x7f3d91b0
	.long	809367801                       ; 0x303df8f9
	.long	1667936422                      ; 0x636ab0a6
	.long	1358744245                      ; 0x50fccab5
	;; [unrolled: 1-line block ×4, first 2 shown]
	.long	647580587                       ; 0x26994bab
	.long	1460988169                      ; 0x5714e909
	.long	2318828416                      ; 0x8a368380
	;; [unrolled: 1-line block ×6, first 2 shown]
	.long	49464436                        ; 0x2f2c474
	.long	2674694926                      ; 0x9f6c9b0e
	.long	2404530503                      ; 0x8f523947
	;; [unrolled: 1-line block ×3, first 2 shown]
	.long	692294537                       ; 0x29439389
	.long	1803418945                      ; 0x6b7dfd41
	.long	1645995464                      ; 0x621be5c8
	;; [unrolled: 1-line block ×3, first 2 shown]
	.long	706771848                       ; 0x2a207b88
	.long	3734467362                      ; 0xde977322
	.long	2407932841                      ; 0x8f8623a9
	.long	670964862                       ; 0x27fe1c7e
	.long	1337146928                      ; 0x4fb33e30
	.long	1449841372                      ; 0x566ad2dc
	;; [unrolled: 1-line block ×12, first 2 shown]
	.long	565106475                       ; 0x21aed72b
	.long	2063548817                      ; 0x7aff4191
	.long	2716443687                      ; 0xa1e9a427
	;; [unrolled: 1-line block ×3, first 2 shown]
	.long	915509292                       ; 0x3691902c
	.long	397356303                       ; 0x17af2d0f
	.long	1049916999                      ; 0x3e947647
	.long	204830047                       ; 0xc35755f
	.long	1086107506                      ; 0x40bcaf72
	.long	1795464380                      ; 0x6b049cbc
	.long	3485315196                      ; 0xcfbdb07c
	.long	2183256184                      ; 0x8221d878
	.long	662578255                       ; 0x277e244f
	.long	3645735256                      ; 0xd94d8158
	.long	850847993                       ; 0x32b6e8f9
	.long	1794523220                      ; 0x6af64054
	.long	2943700388                      ; 0xaf754da4
	.long	4237140216                      ; 0xfc8da0f8
	.long	1126950                         ; 0x113226
	.long	2601642298                      ; 0x9b11e93a
	.long	1469035973                      ; 0x578fb5c5
	.long	535075238                       ; 0x1fe499a6
	.long	92392213                        ; 0x581cb15
	.long	3668777652                      ; 0xdaad1ab4
	.long	756260381                       ; 0x2d139e1d
	.long	41782389                        ; 0x27d8c75
	.long	1043025574                      ; 0x3e2b4ea6
	.long	1123105466                      ; 0x42f13aba
	.long	738274780                       ; 0x2c012ddc
	.long	1846857904                      ; 0x6e14d0b0
	.long	3185630605                      ; 0xbde0dd8d
	;; [unrolled: 1-line block ×6, first 2 shown]
	.long	564221408                       ; 0x21a155e0
	.long	2528599862                      ; 0x96b75f36
	.long	2356214088                      ; 0x8c70f948
	;; [unrolled: 1-line block ×5, first 2 shown]
	.long	592094844                       ; 0x234aa67c
	.long	4266261353                      ; 0xfe49fb69
	.long	3844986377                      ; 0xe52dd609
	;; [unrolled: 1-line block ×3, first 2 shown]
	.long	56968669                        ; 0x36545dd
	.long	629503707                       ; 0x258576db
	.long	3166457679                      ; 0xbcbc4f4f
	.long	1001761927                      ; 0x3bb5ac87
	;; [unrolled: 1-line block ×5, first 2 shown]
	.long	496099322                       ; 0x1d91dffa
	.long	541676954                       ; 0x2049559a
	.long	4143543278                      ; 0xf6f973ee
	.long	1941480444                      ; 0x73b8a3fc
	;; [unrolled: 1-line block ×3, first 2 shown]
	.long	31832949                        ; 0x1e5bb75
	.long	3805791401                      ; 0xe2d7c4a9
	.long	4056283801                      ; 0xf1c5fa99
	.long	242812250                       ; 0xe79055a
	.long	4072988068                      ; 0xf2c4dda4
	.long	2316479446                      ; 0x8a12abd6
	;; [unrolled: 1-line block ×7, first 2 shown]
	.long	342600216                       ; 0x146baa18
	.long	98745656                        ; 0x5e2bd38
	.long	2541799209                      ; 0x9780c729
	.long	926067404                       ; 0x3732aacc
	.long	2733213159                      ; 0xa2e985e7
	.long	3163537903                      ; 0xbc8fc1ef
	;; [unrolled: 1-line block ×7, first 2 shown]
	.long	690503808                       ; 0x29284080
	.long	3799637505                      ; 0xe279de01
	.long	1000641330                      ; 0x3ba49332
	.long	242588257                       ; 0xe759a61
	.long	3657834529                      ; 0xda062021
	.long	824791208                       ; 0x312950a8
	.long	2529299371                      ; 0x96c20bab
	.long	4081898575                      ; 0xf34cd44f
	.long	2120338882                      ; 0x7e61cdc2
	.long	1273883107                      ; 0x4bede9e3
	.long	1680877886                      ; 0x6430293e
	.long	1253060582                      ; 0x4ab02fe6
	.long	1760259553                      ; 0x68eb6de1
	.long	2250763915                      ; 0x8627ee8b
	.long	31780198                        ; 0x1e4ed66
	.long	2511451445                      ; 0x95b1b535
	.long	3102141340                      ; 0xb8e6eb9c
	.long	861489797                       ; 0x33594a85
	.long	105854693                       ; 0x64f36e5
	.long	70927387                        ; 0x43a441b
	.long	2725671050                      ; 0xa276708a
	.long	688282241                       ; 0x29065a81
	.long	2622257646                      ; 0x9c4c79ee
	.long	3466254816                      ; 0xce9ad9e0
	;; [unrolled: 1-line block ×9, first 2 shown]
	.long	400926709                       ; 0x17e5a7f5
	.long	523449509                       ; 0x1f3334a5
	.long	2891602783                      ; 0xac5a5b5f
	.long	673425710                       ; 0x2823a92e
	.long	3766475216                      ; 0xe07fd9d0
	.long	2319843954                      ; 0x8a460272
	;; [unrolled: 1-line block ×3, first 2 shown]
	.long	13838840                        ; 0xd329f8
	.long	1908374660                      ; 0x71bf7c84
	.long	3839606132                      ; 0xe4dbbd74
	.long	3829795513                      ; 0xe4460ab9
	.long	3403561639                      ; 0xcade3aa7
	.long	1369780874                      ; 0x51a5328a
	.long	4276407916                      ; 0xfee4ce6c
	.long	3217619                         ; 0x3118d3
	.long	1284482371                      ; 0x4c8fa543
	.long	2020138237                      ; 0x7868dcfd
	;; [unrolled: 1-line block ×6, first 2 shown]
	.long	726494474                       ; 0x2b4d6d0a
	.long	490750173                       ; 0x1d4040dd
	.long	1117517565                      ; 0x429bf6fd
	.long	3498786968                      ; 0xd08b4098
	.long	2163060528                      ; 0x80edaf30
	.long	696718831                       ; 0x298715ef
	.long	2780121254                      ; 0xa5b548a6
	.long	1286646297                      ; 0x4cb0aa19
	.long	1594539045                      ; 0x5f0abc25
	;; [unrolled: 4-line block ×3, first 2 shown]
	.long	2088977769                      ; 0x7c834569
	.long	2737453188                      ; 0xa32a3884
	;; [unrolled: 1-line block ×5, first 2 shown]
	.long	429293789                       ; 0x199680dd
	.long	426390687                       ; 0x196a349f
	.long	3158027863                      ; 0xbc3bae57
	.long	2601897382                      ; 0x9b15cda6
	;; [unrolled: 1-line block ×12, first 2 shown]
	.long	554555739                       ; 0x210dd95b
	.long	4119397989                      ; 0xf5890665
	.long	622818813                       ; 0x251f75fd
	.long	3116222066                      ; 0xb9bdc672
	.long	1801867255                      ; 0x6b664ff7
	;; [unrolled: 1-line block ×4, first 2 shown]
	.long	733457482                       ; 0x2bb7ac4a
	.long	1680421668                      ; 0x64293324
	.long	1035766144                      ; 0x3dbc8980
	.long	468847991                       ; 0x1bf20d77
	.long	3606474156                      ; 0xd6f66dac
	.long	2612692123                      ; 0x9bba849b
	.long	730556693                       ; 0x2b8b6915
	.long	859096521                       ; 0x3334c5c9
	.long	4005878655                      ; 0xeec4db7f
	.long	1138273887                      ; 0x43d8ae5f
	;; [unrolled: 1-line block ×11, first 2 shown]
	.long	371545704                       ; 0x16255668
	.long	3434130670                      ; 0xccb0acee
	.long	3686032092                      ; 0xdbb462dc
	.long	19964088                        ; 0x130a0b8
	.long	340386179                       ; 0x1449e183
	.long	2147090894                      ; 0x7ffa01ce
	.long	1446742483                      ; 0x563b89d3
	;; [unrolled: 1-line block ×3, first 2 shown]
	.long	561888846                       ; 0x217dbe4e
	.long	2903328518                      ; 0xad0d4706
	.long	1524465288                      ; 0x5add7e88
	.long	360120037                       ; 0x1576fee5
	.long	2031515996                      ; 0x7916795c
	.long	1516035872                      ; 0x5a5cdf20
	;; [unrolled: 1-line block ×4, first 2 shown]
	.long	984159948                       ; 0x3aa916cc
	.long	369999653                       ; 0x160dbf25
	;; [unrolled: 1-line block ×3, first 2 shown]
	.long	2402584241                      ; 0x8f3486b1
	.long	3028363830                      ; 0xb4812a36
	.long	252580667                       ; 0xf0e133b
	.long	480470405                       ; 0x1ca36585
	.long	3201548259                      ; 0xbed3bfe3
	.long	2739036185                      ; 0xa3426019
	;; [unrolled: 1-line block ×13, first 2 shown]
	.long	498636511                       ; 0x1db896df
	.long	2292804841                      ; 0x88a96ce9
	.long	1480836858                      ; 0x5843c6fa
	;; [unrolled: 1-line block ×3, first 2 shown]
	.long	196495965                       ; 0xbb64a5d
	.long	2168559184                      ; 0x81419650
	.long	3910150715                      ; 0xe9102a3b
	.long	320076735                       ; 0x1313fbbf
	.long	3144753899                      ; 0xbb7122eb
	.long	3199094529                      ; 0xbeae4f01
	;; [unrolled: 1-line block ×3, first 2 shown]
	.long	728308199                       ; 0x2b6919e7
	.long	2322528104                      ; 0x8a6ef768
	.long	2891334400                      ; 0xac564300
	.long	561853019                       ; 0x217d325b
	.long	4161870615                      ; 0xf8111b17
	.long	1348321971                      ; 0x505dc2b3
	;; [unrolled: 1-line block ×11, first 2 shown]
	.long	478174598                       ; 0x1c805d86
	.long	1087303780                      ; 0x40cef064
	.long	471631659                       ; 0x1c1c872b
	.long	2599553643                      ; 0x9af20a6b
	.long	791527994                       ; 0x2f2dc23a
	.long	563537164                       ; 0x2196e50c
	.long	1238109907                      ; 0x49cc0ed3
	.long	3218421602                      ; 0xbfd53762
	.long	133222502                       ; 0x7f0d066
	.long	4182363220                      ; 0xf949cc54
	.long	305688802                       ; 0x123870e2
	.long	2666439314                      ; 0x9eeea292
	.long	2408520958                      ; 0x8f8f1cfe
	.long	787389550                       ; 0x2eee9c6e
	.long	4226450542                      ; 0xfbea846e
	.long	4107143646                      ; 0xf4ce09de
	.long	4103547035                      ; 0xf497289b
	.long	1840887424                      ; 0x6db9b680
	.long	2686247491                      ; 0xa01ce243
	.long	334267386                       ; 0x13ec83fa
	.long	3772035402                      ; 0xe0d4b14a
	.long	3436827662                      ; 0xccd9d40e
	.long	1411515743                      ; 0x5422055f
	.long	2193739735                      ; 0x82c1cfd7
	.long	1892746640                      ; 0x70d10590
	.long	4163192062                      ; 0xf82544fe
	.long	2921191805                      ; 0xae1dd97d
	.long	1011310614                      ; 0x3c476016
	.long	2178118214                      ; 0x81d37246
	.long	33647321                        ; 0x2016ad9
	.long	1121452997                      ; 0x42d803c5
	.long	507942677                       ; 0x1e469715
	.long	2542792587                      ; 0x978fef8b
	.long	351339975                       ; 0x14f105c7
	.long	1586639416                      ; 0x5e923238
	.long	1918003826                      ; 0x72526a72
	;; [unrolled: 1-line block ×4, first 2 shown]
	.long	606238275                       ; 0x24227643
	.long	1132105249                      ; 0x437a8e21
	.long	574593993                       ; 0x223f9bc9
	.long	2655425816                      ; 0x9e469518
	.long	1680556547                      ; 0x642b4203
	;; [unrolled: 1-line block ×4, first 2 shown]
	.long	90710116                        ; 0x5682064
	.long	4291431098                      ; 0xffca0aba
	.long	1899367028                      ; 0x71360a74
	;; [unrolled: 1-line block ×6, first 2 shown]
	.long	897753268                       ; 0x3582a0b4
	.long	1619454780                      ; 0x6086eb3c
	.long	938130143                       ; 0x37eabadf
	.long	1828916640                      ; 0x6d030da0
	.long	3620488958                      ; 0xd7cc46fe
	.long	1822437033                      ; 0x6ca02ea9
	.long	172584228                       ; 0xa496d24
	.long	1853048226                      ; 0x6e7345a2
	.long	3659288522                      ; 0xda1c4fca
	.long	3623450763                      ; 0xd7f9788b
	.long	1893292786                      ; 0x70d95af2
	.long	851522142                       ; 0x32c1325e
	.long	3411705687                      ; 0xcb5a7f57
	;; [unrolled: 5-line block ×3, first 2 shown]
	.long	2320209608                      ; 0x8a4b96c8
	.long	1777678953                      ; 0x69f53a69
	;; [unrolled: 1-line block ×4, first 2 shown]
	.long	252913914                       ; 0xf1328fa
	.long	3648685154                      ; 0xd97a8462
	.long	544382669                       ; 0x20729ecd
	.long	2631141468                      ; 0x9cd4085c
	.long	1524405364                      ; 0x5adc9474
	;; [unrolled: 1-line block ×3, first 2 shown]
	.long	580646927                       ; 0x229bf80f
	.long	2451560151                      ; 0x921fd6d7
	.long	181916967                       ; 0xad7d527
	.long	1426301928                      ; 0x5503a3e8
	.long	1652422182                      ; 0x627df626
	;; [unrolled: 1-line block ×3, first 2 shown]
	.long	176664750                       ; 0xa87b0ae
	.long	1582626255                      ; 0x5e54f5cf
	.long	1675120608                      ; 0x63d84fe0
	;; [unrolled: 1-line block ×5, first 2 shown]
	.long	419906507                       ; 0x190743cb
	.long	886861124                       ; 0x34dc6d44
	.long	1974832558                      ; 0x75b58dae
	.long	3157060904                      ; 0xbc2ced28
	.long	216000225                       ; 0xcdfe6e1
	.long	746978071                       ; 0x2c85fb17
	.long	1424984058                      ; 0x54ef87fa
	.long	1457979883                      ; 0x56e701eb
	.long	809822177                       ; 0x3044e7e1
	.long	3833178010                      ; 0xe479a79a
	.long	3926414726                      ; 0xea085586
	;; [unrolled: 1-line block ×7, first 2 shown]
	.long	548130303                       ; 0x20abcdff
	.long	1118013762                      ; 0x42a38942
	.long	1309103114                      ; 0x4e07540a
	;; [unrolled: 1-line block ×4, first 2 shown]
	.long	228947246                       ; 0xda5752e
	.long	2167410411                      ; 0x81300eeb
	.long	620496852                       ; 0x24fc07d4
	.long	2724112116                      ; 0xa25ea6f4
	;; [unrolled: 2-line block ×3, first 2 shown]
	.long	3085999115                      ; 0xb7f09c0b
	.long	2447267299                      ; 0x91de55e3
	;; [unrolled: 1-line block ×5, first 2 shown]
	.long	39711865                        ; 0x25df479
	.long	1076751044                      ; 0x402deac4
	.long	2546657140                      ; 0x97cae774
	;; [unrolled: 1-line block ×10, first 2 shown]
	.long	368199414                       ; 0x15f246f6
	.long	2292804841                      ; 0x88a96ce9
	.long	1480836858                      ; 0x5843c6fa
	;; [unrolled: 1-line block ×3, first 2 shown]
	.long	196495965                       ; 0xbb64a5d
	.long	3235583934                      ; 0xc0db17be
	.long	3910150715                      ; 0xe9102a3b
	.long	320076735                       ; 0x1313fbbf
	.long	3144753899                      ; 0xbb7122eb
	.long	3199094529                      ; 0xbeae4f01
	;; [unrolled: 1-line block ×3, first 2 shown]
	.long	728308199                       ; 0x2b6919e7
	.long	2322528104                      ; 0x8a6ef768
	.long	2891334400                      ; 0xac564300
	.long	561853019                       ; 0x217d325b
	.long	1515915224                      ; 0x5a5b07d8
	.long	1348321971                      ; 0x505dc2b3
	;; [unrolled: 1-line block ×5, first 2 shown]
	.long	15252704                        ; 0xe8bce0
	.long	3282469664                      ; 0xc3a68320
	.long	1866493654                      ; 0x6f406ed6
	;; [unrolled: 1-line block ×4, first 2 shown]
	.long	192355609                       ; 0xb771d19
	.long	478174598                       ; 0x1c805d86
	.long	1087303780                      ; 0x40cef064
	.long	471631659                       ; 0x1c1c872b
	.long	2599553643                      ; 0x9af20a6b
	.long	1725604263                      ; 0x66daa1a7
	.long	563537164                       ; 0x2196e50c
	.long	1238109907                      ; 0x49cc0ed3
	.long	3218421602                      ; 0xbfd53762
	.long	133222502                       ; 0x7f0d066
	.long	305098282                       ; 0x122f6e2a
	;; [unrolled: 1-line block ×3, first 2 shown]
	.long	2666439314                      ; 0x9eeea292
	.long	2408520958                      ; 0x8f8f1cfe
	.long	787389550                       ; 0x2eee9c6e
	.long	3195522899                      ; 0xbe77cf53
	.long	4107143646                      ; 0xf4ce09de
	;; [unrolled: 1-line block ×17, first 2 shown]
	.long	507942677                       ; 0x1e469715
	.long	2542792587                      ; 0x978fef8b
	.long	351339975                       ; 0x14f105c7
	.long	3599278861                      ; 0xd688a30d
	.long	1918003826                      ; 0x72526a72
	;; [unrolled: 1-line block ×4, first 2 shown]
	.long	606238275                       ; 0x24227643
	.long	446979745                       ; 0x1aa45ea1
	;; [unrolled: 1-line block ×3, first 2 shown]
	.long	2655425816                      ; 0x9e469518
	.long	1680556547                      ; 0x642b4203
	;; [unrolled: 1-line block ×4, first 2 shown]
	.long	90710116                        ; 0x5682064
	.long	4291431098                      ; 0xffca0aba
	.long	1899367028                      ; 0x71360a74
	;; [unrolled: 1-line block ×6, first 2 shown]
	.long	897753268                       ; 0x3582a0b4
	.long	1619454780                      ; 0x6086eb3c
	.long	1429190743                      ; 0x552fb857
	;; [unrolled: 1-line block ×5, first 2 shown]
	.long	172584228                       ; 0xa496d24
	.long	2529855020                      ; 0x96ca862c
	.long	3659288522                      ; 0xda1c4fca
	.long	3623450763                      ; 0xd7f9788b
	.long	1893292786                      ; 0x70d95af2
	.long	851522142                       ; 0x32c1325e
	.long	1417935793                      ; 0x5483fbb1
	.long	4106341088                      ; 0xf4c1cae0
	.long	4109830348                      ; 0xf4f708cc
	.long	1193339049                      ; 0x4720e8a9
	;; [unrolled: 5-line block ×3, first 2 shown]
	.long	3856938396                      ; 0xe5e4359c
	.long	1813134786                      ; 0x6c123dc2
	;; [unrolled: 1-line block ×3, first 2 shown]
	.long	544382669                       ; 0x20729ecd
	.long	2631141468                      ; 0x9cd4085c
	.long	1524405364                      ; 0x5adc9474
	.long	687661410                       ; 0x28fce162
	.long	580646927                       ; 0x229bf80f
	.long	2451560151                      ; 0x921fd6d7
	.long	181916967                       ; 0xad7d527
	.long	1426301928                      ; 0x5503a3e8
	.long	1463347373                      ; 0x5738e8ad
	;; [unrolled: 1-line block ×3, first 2 shown]
	.long	176664750                       ; 0xa87b0ae
	.long	1582626255                      ; 0x5e54f5cf
	.long	1675120608                      ; 0x63d84fe0
	;; [unrolled: 1-line block ×5, first 2 shown]
	.long	419906507                       ; 0x190743cb
	.long	886861124                       ; 0x34dc6d44
	.long	4209699955                      ; 0xfaeaec73
	.long	3157060904                      ; 0xbc2ced28
	.long	216000225                       ; 0xcdfe6e1
	.long	746978071                       ; 0x2c85fb17
	.long	1424984058                      ; 0x54ef87fa
	.long	3063941448                      ; 0xb6a00948
	.long	809822177                       ; 0x3044e7e1
	.long	3833178010                      ; 0xe479a79a
	.long	3926414726                      ; 0xea085586
	.long	1423462846                      ; 0x54d851be
	.long	750559587                       ; 0x2cbca163
	.long	4067020014                      ; 0xf269ccee
	;; [unrolled: 4-line block ×3, first 2 shown]
	.long	1309103114                      ; 0x4e07540a
	.long	2227304261                      ; 0x84c1f745
	;; [unrolled: 1-line block ×3, first 2 shown]
	.long	228947246                       ; 0xda5752e
	.long	774411056                       ; 0x2e289330
	;; [unrolled: 1-line block ×3, first 2 shown]
	.long	2724112116                      ; 0xa25ea6f4
	.long	705259153                       ; 0x2a096691
	.long	3499686911                      ; 0xd098fbff
	.long	2486247387                      ; 0x94311fdb
	.long	2447267299                      ; 0x91de55e3
	.long	4190122199                      ; 0xf9c030d7
	.long	1091465954                      ; 0x410e72e2
	.long	1233728238                      ; 0x498932ee
	.long	54639263                        ; 0x341ba9f
	.long	1076751044                      ; 0x402deac4
	.long	2546657140                      ; 0x97cae774
	;; [unrolled: 1-line block ×9, first 2 shown]
	.long	452427847                       ; 0x1af78047
	.long	368199414                       ; 0x15f246f6
	.long	2292804841                      ; 0x88a96ce9
	.long	1480836858                      ; 0x5843c6fa
	;; [unrolled: 1-line block ×6, first 2 shown]
	.long	320076735                       ; 0x1313fbbf
	.long	3144753899                      ; 0xbb7122eb
	.long	895636897                       ; 0x356255a1
	.long	1374597050                      ; 0x51eeafba
	;; [unrolled: 2-line block ×3, first 2 shown]
	.long	2891334400                      ; 0xac564300
	.long	1871824871                      ; 0x6f91c7e7
	;; [unrolled: 1-line block ×7, first 2 shown]
	.long	15252704                        ; 0xe8bce0
	.long	3282469664                      ; 0xc3a68320
	.long	1866493654                      ; 0x6f406ed6
	;; [unrolled: 1-line block ×4, first 2 shown]
	.long	192355609                       ; 0xb771d19
	.long	478174598                       ; 0x1c805d86
	.long	1087303780                      ; 0x40cef064
	.long	471631659                       ; 0x1c1c872b
	.long	4230260400                      ; 0xfc24a6b0
	.long	1725604263                      ; 0x66daa1a7
	.long	563537164                       ; 0x2196e50c
	.long	1238109907                      ; 0x49cc0ed3
	.long	3218421602                      ; 0xbfd53762
	.long	960481514                       ; 0x393fc8ea
	.long	305098282                       ; 0x122f6e2a
	;; [unrolled: 1-line block ×3, first 2 shown]
	.long	2666439314                      ; 0x9eeea292
	.long	2408520958                      ; 0x8f8f1cfe
	.long	242741163                       ; 0xe77efab
	.long	3195522899                      ; 0xbe77cf53
	.long	4107143646                      ; 0xf4ce09de
	;; [unrolled: 1-line block ×9, first 2 shown]
	.long	545362965                       ; 0x20819415
	.long	1848198417                      ; 0x6e294511
	.long	4163192062                      ; 0xf82544fe
	;; [unrolled: 1-line block ×7, first 2 shown]
	.long	507942677                       ; 0x1e469715
	.long	2542792587                      ; 0x978fef8b
	.long	1948892535                      ; 0x7429bd77
	;; [unrolled: 1-line block ×7, first 2 shown]
	.long	446979745                       ; 0x1aa45ea1
	.long	574593993                       ; 0x223f9bc9
	.long	2655425816                      ; 0x9e469518
	.long	1680556547                      ; 0x642b4203
	;; [unrolled: 1-line block ×4, first 2 shown]
	.long	90710116                        ; 0x5682064
	.long	4291431098                      ; 0xffca0aba
	.long	1899367028                      ; 0x71360a74
	;; [unrolled: 1-line block ×6, first 2 shown]
	.long	897753268                       ; 0x3582a0b4
	.long	2061577225                      ; 0x7ae12c09
	.long	1429190743                      ; 0x552fb857
	;; [unrolled: 1-line block ×10, first 2 shown]
	.long	16446898                        ; 0xfaf5b2
	.long	1417935793                      ; 0x5483fbb1
	.long	4106341088                      ; 0xf4c1cae0
	;; [unrolled: 1-line block ×9, first 2 shown]
	.long	117861450                       ; 0x7066c4a
	.long	1813134786                      ; 0x6c123dc2
	.long	3648685154                      ; 0xd97a8462
	.long	544382669                       ; 0x20729ecd
	.long	2631141468                      ; 0x9cd4085c
	.long	1105253905                      ; 0x41e0d611
	.long	687661410                       ; 0x28fce162
	.long	580646927                       ; 0x229bf80f
	.long	2451560151                      ; 0x921fd6d7
	.long	181916967                       ; 0xad7d527
	.long	1605087684                      ; 0x5fabb1c4
	.long	1463347373                      ; 0x5738e8ad
	;; [unrolled: 1-line block ×3, first 2 shown]
	.long	176664750                       ; 0xa87b0ae
	.long	1582626255                      ; 0x5e54f5cf
	.long	1993431057                      ; 0x76d15811
	;; [unrolled: 1-line block ×5, first 2 shown]
	.long	419906507                       ; 0x190743cb
	.long	3219719670                      ; 0xbfe905f6
	.long	4209699955                      ; 0xfaeaec73
	;; [unrolled: 1-line block ×3, first 2 shown]
	.long	216000225                       ; 0xcdfe6e1
	.long	746978071                       ; 0x2c85fb17
	.long	3304126047                      ; 0xc4f0f65f
	.long	3063941448                      ; 0xb6a00948
	.long	809822177                       ; 0x3044e7e1
	.long	3833178010                      ; 0xe479a79a
	.long	3926414726                      ; 0xea085586
	.long	4061584738                      ; 0xf216dd62
	.long	750559587                       ; 0x2cbca163
	.long	4067020014                      ; 0xf269ccee
	.long	2881559869                      ; 0xabc11d3d
	.long	1376840097                      ; 0x5210e9a1
	.long	973425409                       ; 0x3a054b01
	.long	4056763004                      ; 0xf1cd4a7c
	.long	1309103114                      ; 0x4e07540a
	.long	2227304261                      ; 0x84c1f745
	;; [unrolled: 1-line block ×3, first 2 shown]
	.long	939664759                       ; 0x38022577
	.long	774411056                       ; 0x2e289330
	;; [unrolled: 1-line block ×3, first 2 shown]
	.long	2724112116                      ; 0xa25ea6f4
	.long	705259153                       ; 0x2a096691
	.long	176172666                       ; 0xa802e7a
	.long	2486247387                      ; 0x94311fdb
	.long	2447267299                      ; 0x91de55e3
	;; [unrolled: 1-line block ×4, first 2 shown]
	.long	300145620                       ; 0x11e3dbd4
	.long	54639263                        ; 0x341ba9f
	.long	1076751044                      ; 0x402deac4
	.long	2546657140                      ; 0x97cae774
	.long	2771792972                      ; 0xa536344c
	.long	188149161                       ; 0xb36eda9
	.long	1152150303                      ; 0x44ac6b1f
	.long	3857150586                      ; 0xe5e7727a
	;; [unrolled: 1-line block ×4, first 2 shown]
	.long	626100323                       ; 0x25518863
	.long	452427847                       ; 0x1af78047
	;; [unrolled: 1-line block ×3, first 2 shown]
	.long	2292804841                      ; 0x88a96ce9
	.long	1480836858                      ; 0x5843c6fa
	.long	2700509669                      ; 0xa0f681e5
	.long	1929008184                      ; 0x72fa5438
	.long	3235583934                      ; 0xc0db17be
	.long	3910150715                      ; 0xe9102a3b
	.long	320076735                       ; 0x1313fbbf
	.long	1715326239                      ; 0x663dcd1f
	.long	895636897                       ; 0x356255a1
	.long	1374597050                      ; 0x51eeafba
	;; [unrolled: 2-line block ×3, first 2 shown]
	.long	2356051490                      ; 0x8c6e7e22
	.long	1871824871                      ; 0x6f91c7e7
	;; [unrolled: 1-line block ×5, first 2 shown]
	.long	243332180                       ; 0xe80f454
	.long	3170568098                      ; 0xbcfb07a2
	.long	15252704                        ; 0xe8bce0
	.long	3282469664                      ; 0xc3a68320
	.long	1866493654                      ; 0x6f406ed6
	;; [unrolled: 1-line block ×4, first 2 shown]
	.long	192355609                       ; 0xb771d19
	.long	478174598                       ; 0x1c805d86
	.long	1087303780                      ; 0x40cef064
	.long	3787911270                      ; 0xe1c6f066
	;; [unrolled: 1-line block ×4, first 2 shown]
	.long	563537164                       ; 0x2196e50c
	.long	1238109907                      ; 0x49cc0ed3
	.long	1147223471                      ; 0x44613daf
	.long	960481514                       ; 0x393fc8ea
	.long	305098282                       ; 0x122f6e2a
	;; [unrolled: 1-line block ×3, first 2 shown]
	.long	2666439314                      ; 0x9eeea292
	.long	1503870433                      ; 0x59a33de1
	.long	242741163                       ; 0xe77efab
	.long	3195522899                      ; 0xbe77cf53
	.long	4107143646                      ; 0xf4ce09de
	;; [unrolled: 1-line block ×9, first 2 shown]
	.long	545362965                       ; 0x20819415
	.long	1848198417                      ; 0x6e294511
	.long	4163192062                      ; 0xf82544fe
	.long	2921191805                      ; 0xae1dd97d
	.long	793561655                       ; 0x2f4cca37
	.long	1196775493                      ; 0x47555845
	.long	3474206203                      ; 0xcf142dfb
	.long	1121452997                      ; 0x42d803c5
	.long	507942677                       ; 0x1e469715
	.long	3788690254                      ; 0xe1d2d34e
	.long	1948892535                      ; 0x7429bd77
	.long	3599278861                      ; 0xd688a30d
	.long	1918003826                      ; 0x72526a72
	.long	2513357034                      ; 0x95cec8ea
	;; [unrolled: 1-line block ×4, first 2 shown]
	.long	446979745                       ; 0x1aa45ea1
	.long	574593993                       ; 0x223f9bc9
	.long	2655425816                      ; 0x9e469518
	.long	667233719                       ; 0x27c52db7
	.long	2986869736                      ; 0xb20803e8
	.long	3338512802                      ; 0xc6fda9a2
	.long	90710116                        ; 0x5682064
	.long	4291431098                      ; 0xffca0aba
	.long	2027122085                      ; 0x78d36da5
	;; [unrolled: 1-line block ×17, first 2 shown]
	.long	16446898                        ; 0xfaf5b2
	.long	1417935793                      ; 0x5483fbb1
	.long	4106341088                      ; 0xf4c1cae0
	;; [unrolled: 1-line block ×9, first 2 shown]
	.long	117861450                       ; 0x7066c4a
	.long	1813134786                      ; 0x6c123dc2
	.long	3648685154                      ; 0xd97a8462
	.long	544382669                       ; 0x20729ecd
	.long	3108229631                      ; 0xb943d1ff
	.long	1105253905                      ; 0x41e0d611
	.long	687661410                       ; 0x28fce162
	.long	580646927                       ; 0x229bf80f
	.long	2451560151                      ; 0x921fd6d7
	.long	1160575897                      ; 0x452cfb99
	;; [unrolled: 1-line block ×5, first 2 shown]
	.long	176664750                       ; 0xa87b0ae
	.long	1998534134                      ; 0x771f35f6
	.long	1993431057                      ; 0x76d15811
	;; [unrolled: 1-line block ×9, first 2 shown]
	.long	216000225                       ; 0xcdfe6e1
	.long	902956869                       ; 0x35d20745
	.long	3304126047                      ; 0xc4f0f65f
	.long	3063941448                      ; 0xb6a00948
	.long	809822177                       ; 0x3044e7e1
	.long	3833178010                      ; 0xe479a79a
	.long	815366736                       ; 0x30998250
	;; [unrolled: 2-line block ×3, first 2 shown]
	.long	4067020014                      ; 0xf269ccee
	.long	2881559869                      ; 0xabc11d3d
	.long	350775477                       ; 0x14e868b5
	.long	973425409                       ; 0x3a054b01
	.long	4056763004                      ; 0xf1cd4a7c
	.long	1309103114                      ; 0x4e07540a
	;; [unrolled: 1-line block ×4, first 2 shown]
	.long	939664759                       ; 0x38022577
	.long	774411056                       ; 0x2e289330
	;; [unrolled: 1-line block ×3, first 2 shown]
	.long	2724112116                      ; 0xa25ea6f4
	.long	3593903529                      ; 0xd6369da9
	.long	176172666                       ; 0xa802e7a
	.long	2486247387                      ; 0x94311fdb
	.long	2447267299                      ; 0x91de55e3
	.long	4190122199                      ; 0xf9c030d7
	.long	1450746791                      ; 0x5678a3a7
	.long	1521739409                      ; 0x5ab3e691
	.long	272699299                       ; 0x10410fa3
	.long	4113952664                      ; 0xf535ef98
	.long	1408743622                      ; 0x53f7b8c6
	;; [unrolled: 1-line block ×16, first 2 shown]
	.long	89761304                        ; 0x559a618
	.long	489201378                       ; 0x1d289ee2
	.long	1236489133                      ; 0x49b353ad
	.long	2774076159                      ; 0xa5590aff
	.long	822652970                       ; 0x3108b02a
	.long	1583752702                      ; 0x5e6625fe
	.long	1781766972                      ; 0x6a339b3c
	;; [unrolled: 1-line block ×9, first 2 shown]
	.long	704049384                       ; 0x29f6f0e8
	.long	3238382362                      ; 0xc105cb1a
	.long	2405156187                      ; 0x8f5bc55b
	;; [unrolled: 1-line block ×3, first 2 shown]
	.long	531907732                       ; 0x1fb44494
	.long	2240111412                      ; 0x85856334
	.long	4102445586                      ; 0xf4865a12
	.long	849739856                       ; 0x32a60050
	.long	3649572083                      ; 0xd9880cf3
	.long	3317634415                      ; 0xc5bf156f
	;; [unrolled: 1-line block ×5, first 2 shown]
	.long	648360156                       ; 0x26a530dc
	.long	1364897187                      ; 0x515aada3
	.long	289264571                       ; 0x113dd3bb
	.long	1625825195                      ; 0x60e81fab
	.long	1075970578                      ; 0x40220212
	;; [unrolled: 1-line block ×4, first 2 shown]
	.long	727038162                       ; 0x2b55b8d2
	.long	2824687935                      ; 0xa85d513f
	.long	3844230994                      ; 0xe5224f52
	;; [unrolled: 1-line block ×6, first 2 shown]
	.long	183041221                       ; 0xae8fcc5
	.long	3759390508                      ; 0xe013bf2c
	.long	3881974011                      ; 0xe76238fb
	.long	658115161                       ; 0x273a0a59
	.long	560642175                       ; 0x216ab87f
	.long	32860408                        ; 0x1f568f8
	.long	1321227669                      ; 0x4ec05595
	.long	1380454450                      ; 0x52481032
	;; [unrolled: 1-line block ×3, first 2 shown]
	.long	476585241                       ; 0x1c681d19
	.long	4034481274                      ; 0xf0794c7a
	.long	1110506516                      ; 0x4230fc14
	.long	815601591                       ; 0x309d17b7
	.long	2009522227                      ; 0x77c6e033
	.long	2168306897                      ; 0x813dbcd1
	;; [unrolled: 1-line block ×7, first 2 shown]
	.long	23109943                        ; 0x160a137
	.long	670045122                       ; 0x27f013c2
	.long	2926671795                      ; 0xae7177b3
	.long	4269143768                      ; 0xfe75f6d8
	;; [unrolled: 1-line block ×9, first 2 shown]
	.long	109336276                       ; 0x68456d4
	.long	2446546057                      ; 0x91d35489
	.long	2225682064                      ; 0x84a93690
	;; [unrolled: 1-line block ×4, first 2 shown]
	.long	369718877                       ; 0x1609765d
	.long	3411726117                      ; 0xcb5acf25
	.long	703735748                       ; 0x29f227c4
	.long	3139527634                      ; 0xbb2163d2
	.long	22388546                        ; 0x1559f42
	.long	998860697                       ; 0x3b896799
	.long	2532911305                      ; 0x96f928c9
	.long	1532808237                      ; 0x5b5ccc2d
	;; [unrolled: 1-line block ×11, first 2 shown]
	.long	991305574                       ; 0x3b161f66
	.long	898158502                       ; 0x3588cfa6
	.long	2898908951                      ; 0xacc9d717
	.long	651161128                       ; 0x26cfee28
	.long	1952607949                      ; 0x74626ecd
	.long	1221528540                      ; 0x48cf0bdc
	.long	29979722                        ; 0x1c9744a
	.long	3006846808                      ; 0xb338d758
	.long	2911550178                      ; 0xad8abae2
	.long	2569412437                      ; 0x99261f55
	.long	1460616937                      ; 0x570f3ee9
	.long	2127921978                      ; 0x7ed5833a
	.long	3689931108                      ; 0xdbefe164
	.long	950505297                       ; 0x38a78f51
	.long	3469337654                      ; 0xcec9e436
	.long	3180457017                      ; 0xbd91ec39
	;; [unrolled: 1-line block ×5, first 2 shown]
	.long	391248106                       ; 0x1751f8ea
	.long	3622065314                      ; 0xd7e454a2
	.long	2143251073                      ; 0x7fbf6a81
	.long	860219584                       ; 0x3345e8c0
	.long	323835636                       ; 0x134d56f4
	;; [unrolled: 1-line block ×3, first 2 shown]
	.long	1805485977                      ; 0x6b9d8799
	.long	109344001                       ; 0x6847501
	.long	1537119779                      ; 0x5b9e9623
	.long	1795626099                      ; 0x6b071473
	;; [unrolled: 1-line block ×9, first 2 shown]
	.long	91252225                        ; 0x5706601
	.long	2018366053                      ; 0x784dd265
	.long	39675212                        ; 0x25d654c
	.long	979320891                       ; 0x3a5f403b
	.long	343397131                       ; 0x1477d30b
	;; [unrolled: 1-line block ×4, first 2 shown]
	.long	3287033048                      ; 0xc3ec24d8
	.long	3379301026                      ; 0xc96c0aa2
	;; [unrolled: 1-line block ×24, first 2 shown]
	.long	688245437                       ; 0x2905cabd
	.long	2593335056                      ; 0x9a932710
	.long	1657668516                      ; 0x62ce03a4
	;; [unrolled: 1-line block ×14, first 2 shown]
	.long	890124736                       ; 0x350e39c0
	.long	2185462193                      ; 0x824381b1
	.long	765141735                       ; 0x2d9b22e7
	.long	1841745804                      ; 0x6dc6cf8c
	.long	3562499272                      ; 0xd4576cc8
	.long	1437907207                      ; 0x55b4b907
	.long	2127475991                      ; 0x7eceb517
	.long	2845453063                      ; 0xa99a2b07
	.long	4007976206                      ; 0xeee4dd0e
	.long	4160093314                      ; 0xf7f5fc82
	.long	2717704308                      ; 0xa1fce074
	.long	4193767498                      ; 0xf9f7d04a
	.long	1667876711                      ; 0x6369c767
	.long	3477753188                      ; 0xcf4a4d64
	.long	3150367681                      ; 0xbbc6cbc1
	.long	3224086539                      ; 0xc02ba80b
	.long	231347764                       ; 0xdca1634
	.long	2737121599                      ; 0xa325293f
	.long	1230656103                      ; 0x495a5267
	;; [unrolled: 1-line block ×9, first 2 shown]
	.long	685134804                       ; 0x28d653d4
	.long	3861095208                      ; 0xe623a328
	.long	1088109135                      ; 0x40db3a4f
	.long	815655228                       ; 0x309de93c
	.long	2618003265                      ; 0x9c0b8f41
	.long	3454840568                      ; 0xcdecaef8
	;; [unrolled: 1-line block ×4, first 2 shown]
	.long	663034899                       ; 0x27851c13
	.long	4020374281                      ; 0xefa20b09
	.long	1896863688                      ; 0x710fd7c8
	.long	677285319                       ; 0x285e8dc7
	.long	4047674693                      ; 0xf1429d45
	.long	4098535894                      ; 0xf44ab1d6
	.long	2038783953                      ; 0x79855fd1
	.long	236635760                       ; 0xe1ac670
	.long	3641273565                      ; 0xd9096cdd
	;; [unrolled: 4-line block ×3, first 2 shown]
	.long	3653227559                      ; 0xd9bfd427
	.long	281949942                       ; 0x10ce36f6
	.long	1847600066                      ; 0x6e2023c2
	.long	4168753288                      ; 0xf87a2088
	;; [unrolled: 1-line block ×6, first 2 shown]
	.long	468768748                       ; 0x1bf0d7ec
	.long	2745777741                      ; 0xa3a93e4d
	.long	26635454                        ; 0x1966cbe
	.long	837186232                       ; 0x31e672b8
	.long	206931043                       ; 0xc558463
	.long	2601865569                      ; 0x9b155161
	.long	2021732453                      ; 0x78813065
	;; [unrolled: 1-line block ×3, first 2 shown]
	.long	786833002                       ; 0x2ee61e6a
	.long	116631308                       ; 0x6f3a70c
	.long	1604778670                      ; 0x5fa6faae
	.long	437644814                       ; 0x1a15ee0e
	.long	2437761489                      ; 0x914d49d1
	.long	3573139998                      ; 0xd4f9ca1e
	.long	2637030522                      ; 0x9d2de47a
	.long	972076738                       ; 0x39f0b6c2
	.long	4075927397                      ; 0xf2f1b765
	.long	1427554739                      ; 0x5516c1b3
	.long	597414077                       ; 0x239bd0bd
	.long	559325169                       ; 0x21569ff1
	.long	1774857312                      ; 0x69ca2c60
	.long	224593737                       ; 0xd630749
	.long	3697511293                      ; 0xdc638b7d
	.long	3905126277                      ; 0xe8c37f85
	;; [unrolled: 1-line block ×4, first 2 shown]
	.long	333176687                       ; 0x13dbdf6f
	.long	2988562696                      ; 0xb221d908
	.long	3623938567                      ; 0xd800ea07
	;; [unrolled: 1-line block ×9, first 2 shown]
	.long	565952761                       ; 0x21bbc0f9
	.long	566996714                       ; 0x21cbaeea
	;; [unrolled: 1-line block ×3, first 2 shown]
	.long	3648349163                      ; 0xd97563eb
	.long	115456167                       ; 0x6e1b8a7
	.long	3265051494                      ; 0xc29cbb66
	.long	2826313040                      ; 0xa8761d50
	;; [unrolled: 1-line block ×6, first 2 shown]
	.long	959265349                       ; 0x392d3a45
	.long	851980436                       ; 0x32c83094
	.long	3105565302                      ; 0xb91b2a76
	.long	2905096898                      ; 0xad2842c2
	.long	342438530                       ; 0x14693282
	.long	3428101638                      ; 0xcc54ae06
	.long	912389587                       ; 0x3661f5d3
	.long	2306839396                      ; 0x897f9364
	.long	3613297213                      ; 0xd75e8a3d
	.long	200159550                       ; 0xbee313e
	.long	3406974927                      ; 0xcb124fcf
	.long	832121231                       ; 0x3199298f
	.long	2998593393                      ; 0xb2bae771
	.long	1242069873                      ; 0x4a087b71
	;; [unrolled: 1-line block ×6, first 2 shown]
	.long	986958825                       ; 0x3ad3cbe9
	.long	3332332947                      ; 0xc69f5d93
	.long	1610600284                      ; 0x5fffcf5c
	;; [unrolled: 1-line block ×4, first 2 shown]
	.long	537698841                       ; 0x200ca219
	.long	2234324389                      ; 0x852d15a5
	.long	1682296894                      ; 0x6445d03e
	;; [unrolled: 1-line block ×20, first 2 shown]
	.long	688245437                       ; 0x2905cabd
	.long	2593335056                      ; 0x9a932710
	.long	1657668516                      ; 0x62ce03a4
	;; [unrolled: 1-line block ×3, first 2 shown]
	.long	260803614                       ; 0xf8b8c1e
	.long	2460564382                      ; 0x92a93b9e
	.long	2811435329                      ; 0xa7931941
	;; [unrolled: 1-line block ×9, first 2 shown]
	.long	688976997                       ; 0x2910f465
	.long	890124736                       ; 0x350e39c0
	.long	2185462193                      ; 0x824381b1
	.long	765141735                       ; 0x2d9b22e7
	.long	1841745804                      ; 0x6dc6cf8c
	.long	1113361455                      ; 0x425c8c2f
	;; [unrolled: 1-line block ×11, first 2 shown]
	.long	449353539                       ; 0x1ac89743
	.long	3224086539                      ; 0xc02ba80b
	.long	231347764                       ; 0xdca1634
	.long	2737121599                      ; 0xa325293f
	.long	1230656103                      ; 0x495a5267
	;; [unrolled: 1-line block ×9, first 2 shown]
	.long	685134804                       ; 0x28d653d4
	.long	3861095208                      ; 0xe623a328
	.long	1088109135                      ; 0x40db3a4f
	;; [unrolled: 1-line block ×10, first 2 shown]
	.long	677285319                       ; 0x285e8dc7
	.long	4047674693                      ; 0xf1429d45
	.long	4043186819                      ; 0xf0fe2283
	;; [unrolled: 1-line block ×3, first 2 shown]
	.long	236635760                       ; 0xe1ac670
	.long	3641273565                      ; 0xd9096cdd
	.long	3568356824                      ; 0xd4b0cdd8
	;; [unrolled: 1-line block ×3, first 2 shown]
	.long	186484522                       ; 0xb1d872a
	.long	3626346451                      ; 0xd825a7d3
	.long	3653227559                      ; 0xd9bfd427
	.long	281949942                       ; 0x10ce36f6
	.long	1896524045                      ; 0x710aa90d
	.long	4168753288                      ; 0xf87a2088
	.long	1723123703                      ; 0x66b4c7f7
	.long	3600798445                      ; 0xd69fd2ed
	.long	4267802363                      ; 0xfe617efb
	.long	412498526                       ; 0x18963a5e
	.long	468768748                       ; 0x1bf0d7ec
	.long	2745777741                      ; 0xa3a93e4d
	.long	26635454                        ; 0x1966cbe
	.long	837186232                       ; 0x31e672b8
	.long	1473941762                      ; 0x57da9102
	.long	2601865569                      ; 0x9b155161
	.long	2021732453                      ; 0x78813065
	.long	3171165636                      ; 0xbd0425c4
	.long	786833002                       ; 0x2ee61e6a
	.long	3461566768                      ; 0xce535130
	.long	1604778670                      ; 0x5fa6faae
	.long	437644814                       ; 0x1a15ee0e
	.long	2437761489                      ; 0x914d49d1
	.long	3573139998                      ; 0xd4f9ca1e
	.long	306196591                       ; 0x1240306f
	.long	972076738                       ; 0x39f0b6c2
	.long	4075927397                      ; 0xf2f1b765
	.long	1427554739                      ; 0x5516c1b3
	.long	597414077                       ; 0x239bd0bd
	.long	2401305323                      ; 0x8f2102eb
	.long	1774857312                      ; 0x69ca2c60
	;; [unrolled: 3-line block ×3, first 2 shown]
	.long	1527832817                      ; 0x5b10e0f1
	.long	1847061846                      ; 0x6e17ed56
	.long	333176687                       ; 0x13dbdf6f
	.long	2988562696                      ; 0xb221d908
	.long	3623938567                      ; 0xd800ea07
	.long	2731158470                      ; 0xa2ca2bc6
	.long	4273100167                      ; 0xfeb25587
	.long	1673622334                      ; 0x63c1733e
	.long	2163644598                      ; 0x80f698b6
	.long	3666601063                      ; 0xda8be467
	.long	1991088422                      ; 0x76ad9926
	.long	4176957983                      ; 0xf8f7521f
	.long	565952761                       ; 0x21bbc0f9
	.long	566996714                       ; 0x21cbaeea
	;; [unrolled: 1-line block ×3, first 2 shown]
	.long	1639884175                      ; 0x61bea58f
	.long	115456167                       ; 0x6e1b8a7
	.long	3265051494                      ; 0xc29cbb66
	.long	2826313040                      ; 0xa8761d50
	;; [unrolled: 1-line block ×6, first 2 shown]
	.long	959265349                       ; 0x392d3a45
	.long	851980436                       ; 0x32c83094
	.long	2482970929                      ; 0x93ff2131
	.long	2905096898                      ; 0xad2842c2
	.long	342438530                       ; 0x14693282
	.long	3428101638                      ; 0xcc54ae06
	.long	912389587                       ; 0x3661f5d3
	.long	2716490551                      ; 0xa1ea5b37
	.long	3613297213                      ; 0xd75e8a3d
	.long	200159550                       ; 0xbee313e
	.long	3406974927                      ; 0xcb124fcf
	.long	832121231                       ; 0x3199298f
	.long	2865829307                      ; 0xaad115bb
	.long	1242069873                      ; 0x4a087b71
	;; [unrolled: 1-line block ×6, first 2 shown]
	.long	986958825                       ; 0x3ad3cbe9
	.long	3332332947                      ; 0xc69f5d93
	.long	1610600284                      ; 0x5fffcf5c
	;; [unrolled: 1-line block ×3, first 2 shown]
	.long	164496953                       ; 0x9ce0639
	.long	537698841                       ; 0x200ca219
	.long	2234324389                      ; 0x852d15a5
	.long	1682296894                      ; 0x6445d03e
	;; [unrolled: 1-line block ×3, first 2 shown]
	.long	486931321                       ; 0x1d05fb79
	.long	1112334635                      ; 0x424ce12b
	.long	1754723911                      ; 0x6896f647
	;; [unrolled: 1-line block ×4, first 2 shown]
	.long	898439171                       ; 0x358d1803
	.long	2702680798                      ; 0xa117a2de
	.long	3827569659                      ; 0xe42413fb
	;; [unrolled: 1-line block ×11, first 2 shown]
	.long	688245437                       ; 0x2905cabd
	.long	2593335056                      ; 0x9a932710
	.long	1657668516                      ; 0x62ce03a4
	.long	362342820                       ; 0x1598e9a4
	.long	260803614                       ; 0xf8b8c1e
	.long	2460564382                      ; 0x92a93b9e
	.long	2811435329                      ; 0xa7931941
	;; [unrolled: 1-line block ×9, first 2 shown]
	.long	688976997                       ; 0x2910f465
	.long	890124736                       ; 0x350e39c0
	.long	2185462193                      ; 0x824381b1
	.long	765141735                       ; 0x2d9b22e7
	.long	2445632748                      ; 0x91c564ec
	.long	1113361455                      ; 0x425c8c2f
	;; [unrolled: 1-line block ×11, first 2 shown]
	.long	449353539                       ; 0x1ac89743
	.long	3224086539                      ; 0xc02ba80b
	.long	231347764                       ; 0xdca1634
	.long	2737121599                      ; 0xa325293f
	.long	2917779591                      ; 0xade9c887
	;; [unrolled: 1-line block ×9, first 2 shown]
	.long	685134804                       ; 0x28d653d4
	.long	3861095208                      ; 0xe623a328
	.long	3682591427                      ; 0xdb7fe2c3
	;; [unrolled: 1-line block ×6, first 2 shown]
	.long	988400088                       ; 0x3ae9c9d8
	.long	3235241899                      ; 0xc0d5dfab
	.long	4020374281                      ; 0xefa20b09
	.long	1896863688                      ; 0x710fd7c8
	.long	677285319                       ; 0x285e8dc7
	.long	2749516227                      ; 0xa3e249c3
	.long	4043186819                      ; 0xf0fe2283
	.long	2038783953                      ; 0x79855fd1
	;; [unrolled: 4-line block ×3, first 2 shown]
	.long	186484522                       ; 0xb1d872a
	.long	3626346451                      ; 0xd825a7d3
	.long	3653227559                      ; 0xd9bfd427
	.long	872336642                       ; 0x33fecd02
	.long	1896524045                      ; 0x710aa90d
	.long	4168753288                      ; 0xf87a2088
	;; [unrolled: 1-line block ×4, first 2 shown]
	.long	524095357                       ; 0x1f3d0f7d
	.long	412498526                       ; 0x18963a5e
	;; [unrolled: 1-line block ×3, first 2 shown]
	.long	2745777741                      ; 0xa3a93e4d
	.long	26635454                        ; 0x1966cbe
	.long	840544541                       ; 0x3219b11d
	.long	1473941762                      ; 0x57da9102
	.long	2601865569                      ; 0x9b155161
	;; [unrolled: 1-line block ×7, first 2 shown]
	.long	437644814                       ; 0x1a15ee0e
	.long	2437761489                      ; 0x914d49d1
	.long	3615438045                      ; 0xd77f34dd
	.long	306196591                       ; 0x1240306f
	.long	972076738                       ; 0x39f0b6c2
	.long	4075927397                      ; 0xf2f1b765
	.long	1427554739                      ; 0x5516c1b3
	;; [unrolled: 1-line block ×5, first 2 shown]
	.long	224593737                       ; 0xd630749
	.long	3697511293                      ; 0xdc638b7d
	.long	4186564433                      ; 0xf989e751
	;; [unrolled: 1-line block ×4, first 2 shown]
	.long	333176687                       ; 0x13dbdf6f
	.long	2988562696                      ; 0xb221d908
	.long	4039340326                      ; 0xf0c37126
	;; [unrolled: 1-line block ×6, first 2 shown]
	.long	307949376                       ; 0x125aef40
	.long	1991088422                      ; 0x76ad9926
	.long	4176957983                      ; 0xf8f7521f
	.long	565952761                       ; 0x21bbc0f9
	.long	566996714                       ; 0x21cbaeea
	.long	4159448552                      ; 0xf7ec25e8
	.long	1639884175                      ; 0x61bea58f
	.long	115456167                       ; 0x6e1b8a7
	.long	3265051494                      ; 0xc29cbb66
	.long	2826313040                      ; 0xa8761d50
	;; [unrolled: 1-line block ×6, first 2 shown]
	.long	959265349                       ; 0x392d3a45
	.long	293029699                       ; 0x11774743
	.long	2482970929                      ; 0x93ff2131
	.long	2905096898                      ; 0xad2842c2
	.long	342438530                       ; 0x14693282
	.long	3428101638                      ; 0xcc54ae06
	.long	4172766741                      ; 0xf8b75e15
	;; [unrolled: 1-line block ×4, first 2 shown]
	.long	200159550                       ; 0xbee313e
	.long	3406974927                      ; 0xcb124fcf
	.long	3723281866                      ; 0xddecc5ca
	;; [unrolled: 1-line block ×8, first 2 shown]
	.long	986958825                       ; 0x3ad3cbe9
	.long	3332332947                      ; 0xc69f5d93
	.long	1610600284                      ; 0x5fffcf5c
	;; [unrolled: 1-line block ×3, first 2 shown]
	.long	164496953                       ; 0x9ce0639
	.long	537698841                       ; 0x200ca219
	.long	2234324389                      ; 0x852d15a5
	.long	1682296894                      ; 0x6445d03e
	.long	826891606                       ; 0x31495d56
	.long	486931321                       ; 0x1d05fb79
	.long	1112334635                      ; 0x424ce12b
	.long	1754723911                      ; 0x6896f647
	;; [unrolled: 1-line block ×4, first 2 shown]
	.long	898439171                       ; 0x358d1803
	.long	2702680798                      ; 0xa117a2de
	.long	3827569659                      ; 0xe42413fb
	;; [unrolled: 1-line block ×11, first 2 shown]
	.long	688245437                       ; 0x2905cabd
	.long	2593335056                      ; 0x9a932710
	.long	4151905751                      ; 0xf7790dd7
	.long	362342820                       ; 0x1598e9a4
	.long	260803614                       ; 0xf8b8c1e
	.long	2460564382                      ; 0x92a93b9e
	.long	2811435329                      ; 0xa7931941
	.long	2402832015                      ; 0x8f384e8f
	.long	4248717010                      ; 0xfd3e46d2
	.long	1426048416                      ; 0x54ffc5a0
	.long	1341061221                      ; 0x4feef865
	.long	1361417084                      ; 0x5125937c
	.long	1629089021                      ; 0x6119ecfd
	.long	2693026827                      ; 0xa084540b
	.long	688976997                       ; 0x2910f465
	.long	890124736                       ; 0x350e39c0
	.long	2185462193                      ; 0x824381b1
	.long	303105066                       ; 0x1211042a
	.long	2445632748                      ; 0x91c564ec
	.long	1113361455                      ; 0x425c8c2f
	.long	1437907207                      ; 0x55b4b907
	.long	2127475991                      ; 0x7eceb517
	.long	62024604                        ; 0x3b26b9c
	.long	1830953748                      ; 0x6d222314
	.long	1719248425                      ; 0x6679a629
	.long	2717704308                      ; 0xa1fce074
	.long	4193767498                      ; 0xf9f7d04a
	.long	667433630                       ; 0x27c83a9e
	.long	2469362144                      ; 0x932f79e0
	.long	449353539                       ; 0x1ac89743
	.long	3224086539                      ; 0xc02ba80b
	.long	231347764                       ; 0xdca1634
	.long	3918249451                      ; 0xe98bbdeb
	.long	2917779591                      ; 0xade9c887
	.long	2122699205                      ; 0x7e85d1c5
	;; [unrolled: 1-line block ×8, first 2 shown]
	.long	685134804                       ; 0x28d653d4
	.long	643006688                       ; 0x265380e0
	.long	3682591427                      ; 0xdb7fe2c3
	.long	3954527144                      ; 0xebb54ba8
	;; [unrolled: 1-line block ×5, first 2 shown]
	.long	988400088                       ; 0x3ae9c9d8
	.long	3235241899                      ; 0xc0d5dfab
	.long	4020374281                      ; 0xefa20b09
	;; [unrolled: 1-line block ×7, first 2 shown]
	.long	236635760                       ; 0xe1ac670
	.long	2880089648                      ; 0xabaaae30
	.long	4073317913                      ; 0xf2c9e619
	;; [unrolled: 1-line block ×3, first 2 shown]
	.long	186484522                       ; 0xb1d872a
	.long	3626346451                      ; 0xd825a7d3
	.long	2454620114                      ; 0x924e87d2
	.long	872336642                       ; 0x33fecd02
	.long	1896524045                      ; 0x710aa90d
	.long	4168753288                      ; 0xf87a2088
	;; [unrolled: 1-line block ×4, first 2 shown]
	.long	524095357                       ; 0x1f3d0f7d
	.long	412498526                       ; 0x18963a5e
	;; [unrolled: 1-line block ×3, first 2 shown]
	.long	2745777741                      ; 0xa3a93e4d
	.long	918726515                       ; 0x36c2a773
	.long	840544541                       ; 0x3219b11d
	.long	1473941762                      ; 0x57da9102
	.long	2601865569                      ; 0x9b155161
	;; [unrolled: 1-line block ×7, first 2 shown]
	.long	437644814                       ; 0x1a15ee0e
	.long	2894699005                      ; 0xac8999fd
	.long	3615438045                      ; 0xd77f34dd
	.long	306196591                       ; 0x1240306f
	.long	972076738                       ; 0x39f0b6c2
	.long	4075927397                      ; 0xf2f1b765
	.long	3468671461                      ; 0xcebfb9e5
	;; [unrolled: 1-line block ×5, first 2 shown]
	.long	224593737                       ; 0xd630749
	.long	2734827022                      ; 0xa302260e
	.long	4186564433                      ; 0xf989e751
	;; [unrolled: 1-line block ×4, first 2 shown]
	.long	333176687                       ; 0x13dbdf6f
	.long	2437714719                      ; 0x914c931f
	.long	4039340326                      ; 0xf0c37126
	;; [unrolled: 1-line block ×5, first 2 shown]
	.long	196072958                       ; 0xbafd5fe
	.long	307949376                       ; 0x125aef40
	.long	1991088422                      ; 0x76ad9926
	.long	4176957983                      ; 0xf8f7521f
	.long	565952761                       ; 0x21bbc0f9
	.long	847200194                       ; 0x327f3fc2
	.long	4159448552                      ; 0xf7ec25e8
	.long	1639884175                      ; 0x61bea58f
	.long	115456167                       ; 0x6e1b8a7
	.long	3265051494                      ; 0xc29cbb66
	.long	2503079777                      ; 0x9531f761
	;; [unrolled: 1-line block ×7, first 2 shown]
	.long	293029699                       ; 0x11774743
	.long	2482970929                      ; 0x93ff2131
	.long	2905096898                      ; 0xad2842c2
	.long	342438530                       ; 0x14693282
	.long	581060953                       ; 0x22a24959
	.long	4172766741                      ; 0xf8b75e15
	.long	2716490551                      ; 0xa1ea5b37
	;; [unrolled: 1-line block ×3, first 2 shown]
	.long	200159550                       ; 0xbee313e
	.long	4222335623                      ; 0xfbabba87
	.long	3723281866                      ; 0xddecc5ca
	;; [unrolled: 1-line block ×8, first 2 shown]
	.long	986958825                       ; 0x3ad3cbe9
	.long	3332332947                      ; 0xc69f5d93
	.long	920422540                       ; 0x36dc888c
	.long	3656094274                      ; 0xd9eb9242
	.long	4036161427                      ; 0xf092ef93
	;; [unrolled: 1-line block ×5, first 2 shown]
	.long	199192882                       ; 0xbdf7132
	.long	489599802                       ; 0x1d2eb33a
	.long	3472601685                      ; 0xcefbb255
	.long	717544078                       ; 0x2ac4da8e
	.long	2241742884                      ; 0x859e4824
	.long	3951326913                      ; 0xeb8476c1
	.long	3590866192                      ; 0xd6084510
	.long	1087524220                      ; 0x40d24d7c
	.long	3517385549                      ; 0xd1a70b4d
	.long	360484251                       ; 0x157c8d9b
	.long	2718513148                      ; 0xa20937fc
	.long	1386577185                      ; 0x52a57d21
	.long	1833613127                      ; 0x6d4ab747
	.long	2926418589                      ; 0xae6d9a9d
	.long	1652463225                      ; 0x627e9679
	.long	548895720                       ; 0x20b77be8
	.long	1343026759                      ; 0x500cf647
	.long	1797789098                      ; 0x6b2815aa
	.long	3229783023                      ; 0xc08293ef
	.long	1745843414                      ; 0x680f74d6
	.long	200554865                       ; 0xbf43971
	.long	2442780740                      ; 0x9199e044
	.long	2359926428                      ; 0x8ca99e9c
	;; [unrolled: 1-line block ×4, first 2 shown]
	.long	134294482                       ; 0x8012bd2
	.long	936225458                       ; 0x37cdaab2
	.long	1968264650                      ; 0x755155ca
	.long	64868134                        ; 0x3ddcf26
	.long	3821668262                      ; 0xe3ca07a6
	.long	2502175363                      ; 0x95242a83
	.long	1623767635                      ; 0x60c8ba53
	.long	2936073062                      ; 0xaf00eb66
	.long	1991791011                      ; 0x76b851a3
	.long	2971174068                      ; 0xb11884b4
	.long	3142195911                      ; 0xbb4a1ac7
	.long	2874818345                      ; 0xab5a3f29
	.long	2192526584                      ; 0x82af4cf8
	.long	496586185                       ; 0x1d994dc9
	.long	2491564144                      ; 0x94824070
	.long	2415210641                      ; 0x8ff53091
	.long	314307270                       ; 0x12bbf2c6
	.long	2936737494                      ; 0xaf0b0ed6
	.long	557604388                       ; 0x213c5e24
	.long	1067914024                      ; 0x3fa71328
	.long	3270690738                      ; 0xc2f2c7b2
	.long	375601880                       ; 0x16633ad8
	.long	962749065                       ; 0x39626289
	.long	3610467620                      ; 0xd7335d24
	.long	402112984                       ; 0x17f7c1d8
	.long	1432929499                      ; 0x5568c4db
	.long	3872957776                      ; 0xe6d8a550
	;; [unrolled: 1-line block ×4, first 2 shown]
	.long	407083609                       ; 0x18439a59
	.long	2178236674                      ; 0x81d54102
	.long	1806303230                      ; 0x6ba9fffe
	;; [unrolled: 1-line block ×3, first 2 shown]
	.long	12158764                        ; 0xb9872c
	.long	415570813                       ; 0x18c51b7d
	.long	4033667395                      ; 0xf06ce143
	.long	3687406137                      ; 0xdbc95a39
	.long	801878150                       ; 0x2fcbb086
	.long	953500350                       ; 0x38d542be
	.long	3667783172                      ; 0xda9dee04
	.long	1203668106                      ; 0x47be848a
	.long	902418194                       ; 0x35c9cf12
	.long	779786150                       ; 0x2e7a97a6
	;; [unrolled: 1-line block ×3, first 2 shown]
	.long	2870261992                      ; 0xab14b8e8
	.long	509192460                       ; 0x1e59a90c
	.long	1961621392                      ; 0x74ebf790
	.long	1064906432                      ; 0x3f792ec0
	;; [unrolled: 1-line block ×7, first 2 shown]
	.long	29074501                        ; 0x1bba445
	.long	3472521950                      ; 0xcefa7ade
	.long	4040841657                      ; 0xf0da59b9
	.long	532128023                       ; 0x1fb7a117
	.long	2333441401                      ; 0x8b157d79
	.long	1671717886                      ; 0x63a463fe
	;; [unrolled: 1-line block ×11, first 2 shown]
	.long	730632118                       ; 0x2b8c8fb6
	.long	3162408393                      ; 0xbc7e85c9
	.long	3423660386                      ; 0xcc10e962
	.long	1364968369                      ; 0x515bc3b1
	.long	4270900402                      ; 0xfe90c4b2
	.long	1075484840                      ; 0x401a98a8
	.long	2892932277                      ; 0xac6ea4b5
	.long	3700635052                      ; 0xdc9335ac
	.long	3853022563                      ; 0xe5a87563
	.long	281755151                       ; 0x10cb3e0f
	.long	1530909868                      ; 0x5b3fd4ac
	.long	2364069707                      ; 0x8ce8d74b
	;; [unrolled: 1-line block ×3, first 2 shown]
	.long	738500028                       ; 0x2c049dbc
	.long	1401903990                      ; 0x538f5b76
	.long	1543704261                      ; 0x5c030ec5
	;; [unrolled: 1-line block ×5, first 2 shown]
	.long	740024557                       ; 0x2c1be0ed
	.long	1591015439                      ; 0x5ed4f80f
	.long	2730909167                      ; 0xa2c65def
	;; [unrolled: 1-line block ×12, first 2 shown]
	.long	771243134                       ; 0x2df83c7e
	.long	4037723169                      ; 0xf0aac421
	.long	1715894739                      ; 0x664679d3
	;; [unrolled: 1-line block ×5, first 2 shown]
	.long	121591031                       ; 0x73f54f7
	.long	483980724                       ; 0x1cd8f5b4
	;; [unrolled: 1-line block ×3, first 2 shown]
	.long	2446882279                      ; 0x91d875e7
	.long	856267778                       ; 0x33099c02
	.long	578739009                       ; 0x227edb41
	.long	2978085488                      ; 0xb181fa70
	.long	480884914                       ; 0x1ca9b8b2
	.long	966764808                       ; 0x399fa908
	;; [unrolled: 1-line block ×3, first 2 shown]
	.long	3817520708                      ; 0xe38abe44
	.long	1113646451                      ; 0x4260e573
	;; [unrolled: 1-line block ×4, first 2 shown]
	.long	717151671                       ; 0x2abeddb7
	.long	4149352573                      ; 0xf752187d
	.long	1568869830                      ; 0x5d830dc6
	.long	395015863                       ; 0x178b76b7
	.long	773165995                       ; 0x2e1593ab
	.long	1853682362                      ; 0x6e7cf2ba
	.long	2861368846                      ; 0xaa8d060e
	;; [unrolled: 1-line block ×4, first 2 shown]
	.long	916910638                       ; 0x36a6f22e
	.long	961623451                       ; 0x3951359b
	.long	1193013401                      ; 0x471bf099
	.long	1016438484                      ; 0x3c959ed4
	;; [unrolled: 1-line block ×3, first 2 shown]
	.long	287282633                       ; 0x111f95c9
	.long	8590725                         ; 0x831585
	.long	3575333670                      ; 0xd51b4326
	.long	324340905                       ; 0x13550ca9
	.long	3133751747                      ; 0xbac941c3
	.long	2840894649                      ; 0xa9549cb9
	;; [unrolled: 1-line block ×5, first 2 shown]
	.long	72516413                        ; 0x452833d
	.long	4158424384                      ; 0xf7dc8540
	.long	2184094569                      ; 0x822ea369
	;; [unrolled: 1-line block ×6, first 2 shown]
	.long	768505376                       ; 0x2dce7620
	.long	298782270                       ; 0x11cf0e3e
	;; [unrolled: 1-line block ×3, first 2 shown]
	.long	2694730042                      ; 0xa09e513a
	.long	1479658113                      ; 0x5831ca81
	;; [unrolled: 1-line block ×13, first 2 shown]
	.long	431888679                       ; 0x19be1927
	.long	3780324902                      ; 0xe1532e26
	.long	2525978209                      ; 0x968f5e61
	.long	54545903                        ; 0x3404def
	.long	1688749940                      ; 0x64a84774
	.long	2394884334                      ; 0x8ebf08ee
	;; [unrolled: 1-line block ×3, first 2 shown]
	.long	263834270                       ; 0xfb9ca9e
	.long	1562965459                      ; 0x5d28f5d3
	.long	804704330                       ; 0x2ff6d04a
	.long	4185729868                      ; 0xf97d2b4c
	.long	138898835                       ; 0x8476d93
	.long	2113063150                      ; 0x7df2c8ee
	.long	327612841                       ; 0x1386f9a9
	.long	1252226275                      ; 0x4aa374e3
	.long	935318076                       ; 0x37bfd23c
	.long	2956823075                      ; 0xb03d8a23
	.long	4095101181                      ; 0xf41648fd
	.long	1510586062                      ; 0x5a09b6ce
	.long	156282440                       ; 0x950ae48
	.long	3386839706                      ; 0xc9df129a
	.long	2294393752                      ; 0x88c1ab98
	;; [unrolled: 1-line block ×4, first 2 shown]
	.long	651716500                       ; 0x26d86794
	.long	4115192738                      ; 0xf548dba2
	.long	123027719                       ; 0x7554107
	.long	3873547487                      ; 0xe6e1a4df
	.long	2910637335                      ; 0xad7ccd17
	;; [unrolled: 1-line block ×4, first 2 shown]
	.long	956791985                       ; 0x39077cb1
	.long	2467423726                      ; 0x9311e5ee
	.long	3214531645                      ; 0xbf99dc3d
	;; [unrolled: 1-line block ×3, first 2 shown]
	.long	49634692                        ; 0x2f55d84
	.long	377192215                       ; 0x167b7f17
	.long	1865068750                      ; 0x6f2ab0ce
	.long	2479252980                      ; 0x93c665f4
	;; [unrolled: 1-line block ×4, first 2 shown]
	.long	605491073                       ; 0x24170f81
	.long	4062466752                      ; 0xf22452c0
	.long	988602517                       ; 0x3aece095
	.long	1539348794                      ; 0x5bc0993a
	.long	1555068617                      ; 0x5cb076c9
	.long	2657884010                      ; 0x9e6c176a
	.long	460334294                       ; 0x1b7024d6
	.long	4240766479                      ; 0xfcc4f60f
	.long	3639800790                      ; 0xd8f2f3d6
	.long	253377117                       ; 0xf1a3a5d
	.long	3969136265                      ; 0xec943689
	.long	488705329                       ; 0x1d210d31
	.long	1722560286                      ; 0x66ac2f1e
	.long	2289159295                      ; 0x8871cc7f
	.long	1025876008                      ; 0x3d25a028
	.long	2927117896                      ; 0xae784648
	.long	767521707                       ; 0x2dbf73ab
	.long	2047999999                      ; 0x7a11ffff
	.long	4260853571                      ; 0xfdf77743
	;; [unrolled: 1-line block ×9, first 2 shown]
	.long	26053603                        ; 0x18d8be3
	.long	3162779415                      ; 0xbc842f17
	.long	14843078                        ; 0xe27cc6
	.long	2614076143                      ; 0x9bcfa2ef
	.long	1157531920                      ; 0x44fe8910
	;; [unrolled: 1-line block ×4, first 2 shown]
	.long	435472225                       ; 0x19f4c761
	.long	1399711137                      ; 0x536de5a1
	.long	1224374788                      ; 0x48fa7a04
	;; [unrolled: 1-line block ×3, first 2 shown]
	.long	560135209                       ; 0x2162fc29
	.long	935800607                       ; 0x37c72f1f
	.long	1940258814                      ; 0x73a5fffe
	.long	3826959530                      ; 0xe41ac4aa
	;; [unrolled: 1-line block ×8, first 2 shown]
	.long	177901558                       ; 0xa9a8ff6
	.long	4167531389                      ; 0xf8677b7d
	.long	1375148189                      ; 0x51f7189d
	;; [unrolled: 1-line block ×3, first 2 shown]
	.long	557218961                       ; 0x21367c91
	.long	4088880299                      ; 0xf3b75cab
	.long	3478859071                      ; 0xcf5b2d3f
	;; [unrolled: 1-line block ×8, first 2 shown]
	.long	843542578                       ; 0x32477032
	.long	1907952570                      ; 0x71b90bba
	.long	1544844563                      ; 0x5c147513
	;; [unrolled: 1-line block ×4, first 2 shown]
	.long	734347193                       ; 0x2bc53fb9
	.long	102566945                       ; 0x61d0c21
	.long	2311037104                      ; 0x89bfa0b0
	.long	4294750194                      ; 0xfffcaff2
	;; [unrolled: 1-line block ×3, first 2 shown]
	.long	732958152                       ; 0x2bb00dc8
	.long	263733314                       ; 0xfb84042
	.long	2087890678                      ; 0x7c72aef6
	.long	331542297                       ; 0x13c2ef19
	.long	3549110380                      ; 0xd38b206c
	.long	2073894939                      ; 0x7b9d201b
	.long	2104101380                      ; 0x7d6a0a04
	.long	3670791368                      ; 0xdacbd4c8
	.long	3122901693                      ; 0xba23b2bd
	.long	3799823891                      ; 0xe27cb613
	.long	3783548253                      ; 0xe1845d5d
	.long	1102633864                      ; 0x41b8db88
	.long	44327348                        ; 0x2a461b4
	.long	916910638                       ; 0x36a6f22e
	.long	961623451                       ; 0x3951359b
	.long	1193013401                      ; 0x471bf099
	.long	1016438484                      ; 0x3c959ed4
	;; [unrolled: 1-line block ×3, first 2 shown]
	.long	287282633                       ; 0x111f95c9
	.long	8590725                         ; 0x831585
	.long	3575333670                      ; 0xd51b4326
	.long	324340905                       ; 0x13550ca9
	.long	1144671533                      ; 0x443a4d2d
	.long	2840894649                      ; 0xa9549cb9
	;; [unrolled: 1-line block ×10, first 2 shown]
	.long	533488413                       ; 0x1fcc631d
	.long	3105191537                      ; 0xb9157671
	.long	768505376                       ; 0x2dce7620
	.long	298782270                       ; 0x11cf0e3e
	;; [unrolled: 1-line block ×3, first 2 shown]
	.long	2015456740                      ; 0x78216de4
	.long	1479658113                      ; 0x5831ca81
	;; [unrolled: 1-line block ×10, first 2 shown]
	.long	729503771                       ; 0x2b7b581b
	.long	3748950898                      ; 0xdf747372
	.long	2182744253                      ; 0x821a08bd
	.long	431888679                       ; 0x19be1927
	.long	3780324902                      ; 0xe1532e26
	.long	373638396                       ; 0x164544fc
	.long	54545903                        ; 0x3404def
	.long	1688749940                      ; 0x64a84774
	.long	2394884334                      ; 0x8ebf08ee
	;; [unrolled: 1-line block ×5, first 2 shown]
	.long	804704330                       ; 0x2ff6d04a
	.long	4185729868                      ; 0xf97d2b4c
	.long	138898835                       ; 0x8476d93
	.long	823405282                       ; 0x31142ae2
	;; [unrolled: 1-line block ×3, first 2 shown]
	.long	1252226275                      ; 0x4aa374e3
	.long	935318076                       ; 0x37bfd23c
	.long	2956823075                      ; 0xb03d8a23
	.long	899234846                       ; 0x35993c1e
	;; [unrolled: 2-line block ×3, first 2 shown]
	.long	3386839706                      ; 0xc9df129a
	.long	2294393752                      ; 0x88c1ab98
	.long	2769934879                      ; 0xa519da1f
	.long	4005033667                      ; 0xeeb7f6c3
	.long	651716500                       ; 0x26d86794
	.long	4115192738                      ; 0xf548dba2
	.long	123027719                       ; 0x7554107
	.long	3729538641                      ; 0xde4c3e51
	.long	2910637335                      ; 0xad7ccd17
	;; [unrolled: 1-line block ×4, first 2 shown]
	.long	956791985                       ; 0x39077cb1
	.long	139360134                       ; 0x84e7786
	.long	3214531645                      ; 0xbf99dc3d
	.long	2054232851                      ; 0x7a711b13
	.long	49634692                        ; 0x2f55d84
	.long	377192215                       ; 0x167b7f17
	.long	2754746969                      ; 0xa4321a59
	.long	2479252980                      ; 0x93c665f4
	;; [unrolled: 1-line block ×4, first 2 shown]
	.long	605491073                       ; 0x24170f81
	.long	732155706                       ; 0x2ba3cf3a
	;; [unrolled: 1-line block ×3, first 2 shown]
	.long	1539348794                      ; 0x5bc0993a
	.long	1555068617                      ; 0x5cb076c9
	;; [unrolled: 1-line block ×6, first 2 shown]
	.long	253377117                       ; 0xf1a3a5d
	.long	3969136265                      ; 0xec943689
	.long	3848735787                      ; 0xe5670c2b
	;; [unrolled: 1-line block ×18, first 2 shown]
	.long	14843078                        ; 0xe27cc6
	.long	2614076143                      ; 0x9bcfa2ef
	.long	1157531920                      ; 0x44fe8910
	.long	826449637                       ; 0x31429ee5
	.long	2338825066                      ; 0x8b67a36a
	.long	435472225                       ; 0x19f4c761
	.long	1399711137                      ; 0x536de5a1
	.long	1224374788                      ; 0x48fa7a04
	.long	3770340198                      ; 0xe0bad366
	.long	560135209                       ; 0x2162fc29
	.long	935800607                       ; 0x37c72f1f
	.long	1940258814                      ; 0x73a5fffe
	.long	3826959530                      ; 0xe41ac4aa
	;; [unrolled: 1-line block ×8, first 2 shown]
	.long	177901558                       ; 0xa9a8ff6
	.long	4167531389                      ; 0xf8677b7d
	.long	1375148189                      ; 0x51f7189d
	;; [unrolled: 1-line block ×12, first 2 shown]
	.long	843542578                       ; 0x32477032
	.long	2798365898                      ; 0xa6cbacca
	.long	1544844563                      ; 0x5c147513
	;; [unrolled: 1-line block ×4, first 2 shown]
	.long	734347193                       ; 0x2bc53fb9
	.long	1856808621                      ; 0x6eaca6ad
	.long	2311037104                      ; 0x89bfa0b0
	;; [unrolled: 1-line block ×4, first 2 shown]
	.long	732958152                       ; 0x2bb00dc8
	.long	1999195012                      ; 0x77294b84
	.long	2087890678                      ; 0x7c72aef6
	.long	331542297                       ; 0x13c2ef19
	.long	3549110380                      ; 0xd38b206c
	.long	2073894939                      ; 0x7b9d201b
	.long	3115936764                      ; 0xb9b96bfc
	.long	3670791368                      ; 0xdacbd4c8
	.long	3122901693                      ; 0xba23b2bd
	.long	3799823891                      ; 0xe27cb613
	.long	3783548253                      ; 0xe1845d5d
	.long	132796150                       ; 0x7ea4ef6
	.long	44327348                        ; 0x2a461b4
	.long	916910638                       ; 0x36a6f22e
	.long	961623451                       ; 0x3951359b
	.long	1193013401                      ; 0x471bf099
	.long	1753944196                      ; 0x688b1084
	;; [unrolled: 1-line block ×3, first 2 shown]
	.long	287282633                       ; 0x111f95c9
	.long	8590725                         ; 0x831585
	.long	3575333670                      ; 0xd51b4326
	.long	1447720209                      ; 0x564a7511
	;; [unrolled: 1-line block ×11, first 2 shown]
	.long	402617261                       ; 0x17ff73ad
	.long	533488413                       ; 0x1fcc631d
	.long	3105191537                      ; 0xb9157671
	.long	768505376                       ; 0x2dce7620
	.long	298782270                       ; 0x11cf0e3e
	.long	2915553159                      ; 0xadc7cf87
	.long	2015456740                      ; 0x78216de4
	;; [unrolled: 1-line block ×10, first 2 shown]
	.long	737859212                       ; 0x2bfad68c
	.long	729503771                       ; 0x2b7b581b
	.long	3748950898                      ; 0xdf747372
	.long	2182744253                      ; 0x821a08bd
	.long	431888679                       ; 0x19be1927
	.long	2013420163                      ; 0x78025a83
	.long	373638396                       ; 0x164544fc
	.long	54545903                        ; 0x3404def
	.long	1688749940                      ; 0x64a84774
	.long	2394884334                      ; 0x8ebf08ee
	.long	675998523                       ; 0x284aeb3b
	.long	1083764681                      ; 0x4098efc9
	.long	1562965459                      ; 0x5d28f5d3
	.long	804704330                       ; 0x2ff6d04a
	;; [unrolled: 3-line block ×3, first 2 shown]
	.long	327612841                       ; 0x1386f9a9
	.long	1252226275                      ; 0x4aa374e3
	.long	935318076                       ; 0x37bfd23c
	.long	2420680216                      ; 0x9048a618
	;; [unrolled: 2-line block ×4, first 2 shown]
	.long	2101339651                      ; 0x7d3fe603
	.long	2769934879                      ; 0xa519da1f
	;; [unrolled: 1-line block ×3, first 2 shown]
	.long	651716500                       ; 0x26d86794
	.long	4115192738                      ; 0xf548dba2
	.long	112049740                       ; 0x6adbe4c
	.long	3729538641                      ; 0xde4c3e51
	.long	2910637335                      ; 0xad7ccd17
	;; [unrolled: 1-line block ×4, first 2 shown]
	.long	305695595                       ; 0x12388b6b
	.long	139360134                       ; 0x84e7786
	.long	3214531645                      ; 0xbf99dc3d
	.long	2054232851                      ; 0x7a711b13
	.long	49634692                        ; 0x2f55d84
	.long	1073828255                      ; 0x4001519f
	.long	2754746969                      ; 0xa4321a59
	;; [unrolled: 1-line block ×6, first 2 shown]
	.long	732155706                       ; 0x2ba3cf3a
	.long	988602517                       ; 0x3aece095
	.long	1539348794                      ; 0x5bc0993a
	.long	1555068617                      ; 0x5cb076c9
	;; [unrolled: 1-line block ×6, first 2 shown]
	.long	253377117                       ; 0xf1a3a5d
	.long	872273450                       ; 0x33fdd62a
	.long	3848735787                      ; 0xe5670c2b
	.long	1722560286                      ; 0x66ac2f1e
	;; [unrolled: 1-line block ×17, first 2 shown]
	.long	14843078                        ; 0xe27cc6
	.long	2614076143                      ; 0x9bcfa2ef
	.long	473288515                       ; 0x1c35cf43
	.long	826449637                       ; 0x31429ee5
	.long	2338825066                      ; 0x8b67a36a
	.long	435472225                       ; 0x19f4c761
	.long	1399711137                      ; 0x536de5a1
	.long	3068538992                      ; 0xb6e63070
	;; [unrolled: 1-line block ×3, first 2 shown]
	.long	560135209                       ; 0x2162fc29
	.long	935800607                       ; 0x37c72f1f
	.long	1940258814                      ; 0x73a5fffe
	.long	1469655183                      ; 0x5799288f
	;; [unrolled: 1-line block ×8, first 2 shown]
	.long	177901558                       ; 0xa9a8ff6
	.long	4167531389                      ; 0xf8677b7d
	.long	1375148189                      ; 0x51f7189d
	;; [unrolled: 1-line block ×7, first 2 shown]
	.long	678224549                       ; 0x286ce2a5
	.long	3831557301                      ; 0xe460ecb5
	.long	1756507633                      ; 0x68b22df1
	;; [unrolled: 1-line block ×17, first 2 shown]
	.long	331542297                       ; 0x13c2ef19
	.long	3549110380                      ; 0xd38b206c
	.long	3597797341                      ; 0xd67207dd
	;; [unrolled: 1-line block ×7, first 2 shown]
	.long	132796150                       ; 0x7ea4ef6
	.long	44327348                        ; 0x2a461b4
	.long	916910638                       ; 0x36a6f22e
	.long	961623451                       ; 0x3951359b
	.long	2427821332                      ; 0x90b59d14
	.long	1753944196                      ; 0x688b1084
	;; [unrolled: 1-line block ×3, first 2 shown]
	.long	287282633                       ; 0x111f95c9
	.long	8590725                         ; 0x831585
	.long	1244012658                      ; 0x4a262072
	.long	1447720209                      ; 0x564a7511
	;; [unrolled: 1-line block ×11, first 2 shown]
	.long	402617261                       ; 0x17ff73ad
	.long	533488413                       ; 0x1fcc631d
	.long	3105191537                      ; 0xb9157671
	.long	768505376                       ; 0x2dce7620
	.long	1095141108                      ; 0x414686f4
	.long	2915553159                      ; 0xadc7cf87
	;; [unrolled: 1-line block ×5, first 2 shown]
	.long	337998873                       ; 0x14257419
	.long	3473761811                      ; 0xcf0d6613
	.long	3120736988                      ; 0xba02aadc
	;; [unrolled: 1-line block ×5, first 2 shown]
	.long	737859212                       ; 0x2bfad68c
	.long	729503771                       ; 0x2b7b581b
	.long	3748950898                      ; 0xdf747372
	.long	2182744253                      ; 0x821a08bd
	;; [unrolled: 1-line block ×4, first 2 shown]
	.long	373638396                       ; 0x164544fc
	.long	54545903                        ; 0x3404def
	.long	1688749940                      ; 0x64a84774
	.long	528290088                       ; 0x1f7d1128
	.long	675998523                       ; 0x284aeb3b
	.long	1083764681                      ; 0x4098efc9
	.long	1562965459                      ; 0x5d28f5d3
	.long	804704330                       ; 0x2ff6d04a
	.long	2536362875                      ; 0x972dd37b
	.long	1165431355                      ; 0x4577123b
	.long	823405282                       ; 0x31142ae2
	.long	327612841                       ; 0x1386f9a9
	.long	1252226275                      ; 0x4aa374e3
	.long	4037635314                      ; 0xf0a96cf2
	;; [unrolled: 1-line block ×3, first 2 shown]
	.long	899234846                       ; 0x35993c1e
	.long	1510586062                      ; 0x5a09b6ce
	.long	156282440                       ; 0x950ae48
	.long	2012335895                      ; 0x77f1cf17
	.long	2101339651                      ; 0x7d3fe603
	;; [unrolled: 1-line block ×4, first 2 shown]
	.long	651716500                       ; 0x26d86794
	.long	2552583570                      ; 0x98255592
	.long	112049740                       ; 0x6adbe4c
	.long	3729538641                      ; 0xde4c3e51
	.long	2910637335                      ; 0xad7ccd17
	;; [unrolled: 1-line block ×4, first 2 shown]
	.long	305695595                       ; 0x12388b6b
	.long	139360134                       ; 0x84e7786
	.long	3214531645                      ; 0xbf99dc3d
	.long	2054232851                      ; 0x7a711b13
	;; [unrolled: 1-line block ×9, first 2 shown]
	.long	732155706                       ; 0x2ba3cf3a
	.long	988602517                       ; 0x3aece095
	.long	1539348794                      ; 0x5bc0993a
	.long	4110558494                      ; 0xf502251e
	;; [unrolled: 1-line block ×7, first 2 shown]
	.long	872273450                       ; 0x33fdd62a
	.long	3848735787                      ; 0xe5670c2b
	.long	1722560286                      ; 0x66ac2f1e
	;; [unrolled: 1-line block ×17, first 2 shown]
	.long	14843078                        ; 0xe27cc6
	.long	1513897109                      ; 0x5a3c3c95
	.long	473288515                       ; 0x1c35cf43
	.long	826449637                       ; 0x31429ee5
	.long	2338825066                      ; 0x8b67a36a
	.long	435472225                       ; 0x19f4c761
	.long	322954918                       ; 0x133fe6a6
	.long	3068538992                      ; 0xb6e63070
	.long	3770340198                      ; 0xe0bad366
	.long	560135209                       ; 0x2162fc29
	.long	935800607                       ; 0x37c72f1f
	;; [unrolled: 1-line block ×3, first 2 shown]
	.long	1469655183                      ; 0x5799288f
	.long	2963586762                      ; 0xb0a4beca
	;; [unrolled: 1-line block ×7, first 2 shown]
	.long	177901558                       ; 0xa9a8ff6
	.long	4167531389                      ; 0xf8677b7d
	.long	2161244150                      ; 0x80d1f7f6
	;; [unrolled: 1-line block ×7, first 2 shown]
	.long	678224549                       ; 0x286ce2a5
	.long	3831557301                      ; 0xe460ecb5
	.long	1756507633                      ; 0x68b22df1
	;; [unrolled: 1-line block ×17, first 2 shown]
	.long	331542297                       ; 0x13c2ef19
	.long	1205238749                      ; 0x47d67bdd
	.long	3597797341                      ; 0xd67207dd
	.long	3115936764                      ; 0xb9b96bfc
	.long	3670791368                      ; 0xdacbd4c8
	.long	3122901693                      ; 0xba23b2bd
	.long	2008141679                      ; 0x77b1cf6f
	.long	2018425028                      ; 0x784eb8c4
	.long	3435073328                      ; 0xccbf0f30
	.long	1452813805                      ; 0x56982ded
	.long	1628661138                      ; 0x61136592
	.long	1323367156                      ; 0x4ee0faf4
	.long	1062553693                      ; 0x3f55485d
	.long	4029321700                      ; 0xf02a91e4
	.long	2772685842                      ; 0xa543d412
	.long	3798388850                      ; 0xe266d072
	.long	1315172209                      ; 0x4e63ef71
	.long	3930983291                      ; 0xea4e0b7b
	.long	3816791373                      ; 0xe37f9d4d
	.long	529176017                       ; 0x1f8a95d1
	.long	3419610188                      ; 0xcbd31c4c
	.long	3331589216                      ; 0xc6940460
	;; [unrolled: 1-line block ×9, first 2 shown]
	.long	19774033                        ; 0x12dba51
	.long	2525079911                      ; 0x9681a967
	.long	3774885821                      ; 0xe1002fbd
	;; [unrolled: 1-line block ×3, first 2 shown]
	.long	986111566                       ; 0x3ac6de4e
	.long	1446678953                      ; 0x563a91a9
	.long	3238485630                      ; 0xc1075e7e
	;; [unrolled: 1-line block ×15, first 2 shown]
	.long	783902023                       ; 0x2eb96547
	.long	3129770529                      ; 0xba8c8221
	.long	129130612                       ; 0x7b26074
	.long	821418228                       ; 0x30f5d8f4
	;; [unrolled: 1-line block ×3, first 2 shown]
	.long	3473671510                      ; 0xcf0c0556
	.long	4128495167                      ; 0xf613d63f
	.long	2773832518                      ; 0xa5555346
	.long	683262085                       ; 0x28b9c085
	.long	2143353417                      ; 0x7fc0fa49
	.long	256251732                       ; 0xf461754
	.long	1719056536                      ; 0x6676b898
	.long	2670223618                      ; 0x9f286102
	.long	328467339                       ; 0x1394038b
	.long	1564657740                      ; 0x5d42c84c
	.long	451231672                       ; 0x1ae53fb8
	;; [unrolled: 2-line block ×3, first 2 shown]
	.long	3255241056                      ; 0xc2070960
	.long	3198073758                      ; 0xbe9ebb9e
	;; [unrolled: 1-line block ×4, first 2 shown]
	.long	674933160                       ; 0x283aa9a8
	.long	207753676                       ; 0xc6211cc
	.long	2605303964                      ; 0x9b49c89c
	.long	1681335994                      ; 0x643726ba
	;; [unrolled: 1-line block ×3, first 2 shown]
	.long	448872632                       ; 0x1ac140b8
	.long	302917879                       ; 0x120e28f7
	.long	1100138495                      ; 0x4192c7ff
	.long	2058770021                      ; 0x7ab65665
	;; [unrolled: 1-line block ×9, first 2 shown]
	.long	27677949                        ; 0x1a654fd
	.long	2364721928                      ; 0x8cf2cb08
	.long	175851655                       ; 0xa7b4887
	.long	1468083950                      ; 0x57812eee
	.long	3162369526                      ; 0xbc7dedf6
	;; [unrolled: 1-line block ×3, first 2 shown]
	.long	556978295                       ; 0x2132d077
	.long	2372096172                      ; 0x8d6350ac
	.long	3181101116                      ; 0xbd9bc03c
	.long	2582850132                      ; 0x99f32a54
	.long	1101292643                      ; 0x41a46463
	.long	862643740                       ; 0x336ae61c
	.long	2095546242                      ; 0x7ce77f82
	.long	3261953801                      ; 0xc26d7709
	.long	748040658                       ; 0x2c9631d2
	.long	3970037674                      ; 0xeca1f7aa
	.long	819116843                       ; 0x30d2bb2b
	.long	3594523650                      ; 0xd6401402
	.long	1597423019                      ; 0x5f36bdab
	.long	4109336883                      ; 0xf4ef8133
	.long	1198282420                      ; 0x476c56b4
	.long	2905230517                      ; 0xad2a4cb5
	.long	1729529596                      ; 0x671686fc
	.long	3230132814                      ; 0xc087ea4e
	.long	3640242164                      ; 0xd8f9aff4
	.long	1899059108                      ; 0x713157a4
	.long	1944906555                      ; 0x73eceb3b
	.long	3426510495                      ; 0xcc3c669f
	.long	3035188107                      ; 0xb4e94b8b
	.long	6448083                         ; 0x6263d3
	.long	1093882965                      ; 0x41335455
	.long	2867500469                      ; 0xaaea95b5
	;; [unrolled: 1-line block ×4, first 2 shown]
	.long	897616501                       ; 0x35808a75
	.long	604221668                       ; 0x2403b0e4
	.long	1020676159                      ; 0x3cd6483f
	.long	4083635798                      ; 0xf3675656
	;; [unrolled: 1-line block ×5, first 2 shown]
	.long	30077467                        ; 0x1caf21b
	.long	729231767                       ; 0x2b773197
	.long	3413193248                      ; 0xcb713220
	.long	207000406                       ; 0xc569356
	.long	3854363185                      ; 0xe5bcea31
	.long	3302747326                      ; 0xc4dbecbe
	;; [unrolled: 1-line block ×4, first 2 shown]
	.long	460131091                       ; 0x1b6d0b13
	.long	4159442595                      ; 0xf7ec0ea3
	.long	1133391045                      ; 0x438e2cc5
	;; [unrolled: 1-line block ×4, first 2 shown]
	.long	45931575                        ; 0x2bcdc37
	.long	2922629291                      ; 0xae33c8ab
	.long	789302543                       ; 0x2f0bcd0f
	.long	3024994662                      ; 0xb44dc166
	.long	442525623                       ; 0x1a6067b7
	;; [unrolled: 2-line block ×3, first 2 shown]
	.long	2585361734                      ; 0x9a197d46
	.long	1020449164                      ; 0x3cd2d18c
	.long	1623631007                      ; 0x60c6a49f
	.long	955374631                       ; 0x38f1dc27
	.long	2932467671                      ; 0xaec9e7d7
	.long	3713639221                      ; 0xdd59a335
	.long	3019179416                      ; 0xb3f50598
	.long	977970472                       ; 0x3a4aa528
	;; [unrolled: 4-line block ×3, first 2 shown]
	.long	1218509766                      ; 0x48a0fbc6
	.long	4001537244                      ; 0xee829cdc
	.long	2840913665                      ; 0xa954e701
	.long	2133254364                      ; 0x7f26e0dc
	.long	3332344608                      ; 0xc69f8b20
	.long	475291624                       ; 0x1c545fe8
	.long	1854921599                      ; 0x6e8fdb7f
	.long	2655519695                      ; 0x9e4803cf
	;; [unrolled: 1-line block ×3, first 2 shown]
	.long	319882484                       ; 0x131104f4
	.long	603545603                       ; 0x23f96003
	.long	4175512633                      ; 0xf8e14439
	.long	141286453                       ; 0x86bdc35
	.long	1183670252                      ; 0x468d5fec
	.long	1789500145                      ; 0x6aa99af1
	.long	37351733                        ; 0x239f135
	.long	3190829323                      ; 0xbe30310b
	.long	2782782009                      ; 0xa5dde239
	.long	493805446                       ; 0x1d6edf86
	.long	1228958246                      ; 0x49406a26
	.long	2672482554                      ; 0x9f4ad8fa
	;; [unrolled: 1-line block ×6, first 2 shown]
	.long	687805550                       ; 0x28ff146e
	.long	134516308                       ; 0x8048e54
	.long	3576789728                      ; 0xd5317ae0
	.long	965007022                       ; 0x3984d6ae
	.long	1056542222                      ; 0x3ef98e0e
	.long	2319405423                      ; 0x8a3f516f
	;; [unrolled: 1-line block ×3, first 2 shown]
	.long	950102624                       ; 0x38a16a60
	.long	3848192810                      ; 0xe55ec32a
	.long	3205299696                      ; 0xbf0cfdf0
	.long	82033760                        ; 0x4e3bc60
	.long	1241913280                      ; 0x4a0617c0
	.long	1360146137                      ; 0x51122ed9
	;; [unrolled: 1-line block ×17, first 2 shown]
	.long	193959252                       ; 0xb8f9554
	.long	2793509934                      ; 0xa681942e
	.long	316291605                       ; 0x12da3a15
	.long	2502743884                      ; 0x952cd74c
	.long	1963136977                      ; 0x750317d1
	;; [unrolled: 1-line block ×3, first 2 shown]
	.long	25754513                        ; 0x188fb91
	.long	1590156485                      ; 0x5ec7dcc5
	.long	1856291967                      ; 0x6ea4c47f
	;; [unrolled: 1-line block ×9, first 2 shown]
	.long	77481069                        ; 0x49e446d
	.long	789413194                       ; 0x2f0d7d4a
	.long	2556570543                      ; 0x98622baf
	.long	162987300                       ; 0x9b6fd24
	.long	1960844609                      ; 0x74e01d41
	.long	2973799047                      ; 0xb1409287
	;; [unrolled: 1-line block ×3, first 2 shown]
	.long	315868734                       ; 0x12d3c63e
	.long	2542622968                      ; 0x978d58f8
	.long	3949539136                      ; 0xeb692f40
	;; [unrolled: 1-line block ×6, first 2 shown]
	.long	847792023                       ; 0x32884797
	.long	4031286530                      ; 0xf0488d02
	.long	4194276632                      ; 0xf9ff9518
	.long	164541100                       ; 0x9ceb2ac
	.long	1010135841                      ; 0x3c357321
	.long	143302319                       ; 0x88a9eaf
	.long	1335585015                      ; 0x4f9b68f7
	.long	1237311692                      ; 0x49bfe0cc
	.long	20896020                        ; 0x13ed914
	.long	344974153                       ; 0x148fe349
	.long	2576803233                      ; 0x9996e5a1
	.long	3430251730                      ; 0xcc757cd2
	.long	984163376                       ; 0x3aa92430
	.long	2680612471                      ; 0x9fc6e677
	.long	1276425436                      ; 0x4c14b4dc
	;; [unrolled: 1-line block ×6, first 2 shown]
	.long	998215324                       ; 0x3b7f8e9c
	.long	3127793500                      ; 0xba6e575c
	.long	1759998050                      ; 0x68e77062
	;; [unrolled: 1-line block ×9, first 2 shown]
	.long	157069329                       ; 0x95cb011
	.long	390662438                       ; 0x17490926
	.long	3800994052                      ; 0xe28e9104
	.long	2007694482                      ; 0x77aafc92
	.long	377281730                       ; 0x167cdcc2
	.long	3251789121                      ; 0xc1d25d41
	.long	236703173                       ; 0xe1bcdc5
	.long	122782596                       ; 0x7518384
	;; [unrolled: 1-line block ×3, first 2 shown]
	.long	3394010206                      ; 0xca4c7c5e
	.long	4232159202                      ; 0xfc419fe2
	.long	468321553                       ; 0x1bea0511
	.long	2704615220                      ; 0xa1352734
	.long	1332411375                      ; 0x4f6afbef
	;; [unrolled: 1-line block ×3, first 2 shown]
	.long	989230484                       ; 0x3af67594
	.long	3122841814                      ; 0xba22c8d6
	.long	2348872707                      ; 0x8c00f403
	.long	731335994                       ; 0x2b974d3a
	.long	541354422                       ; 0x204469b6
	;; [unrolled: 1-line block ×3, first 2 shown]
	.long	2225009071                      ; 0x849ef1af
	.long	4230058949                      ; 0xfc2193c5
	;; [unrolled: 1-line block ×11, first 2 shown]
	.long	64834458                        ; 0x3dd4b9a
	.long	1281467967                      ; 0x4c61a63f
	.long	729116355                       ; 0x2b756ec3
	.long	3886390916                      ; 0xe7a59e84
	.long	65029451                        ; 0x3e0454b
	.long	3478506446                      ; 0xcf55cbce
	.long	1387684482                      ; 0x52b66282
	.long	1172004841                      ; 0x45db5fe9
	.long	2525409243                      ; 0x9686afdb
	.long	1677678908                      ; 0x63ff593c
	.long	1704646757                      ; 0x659ad865
	.long	930937262                       ; 0x377cf9ae
	.long	1088384271                      ; 0x40df6d0f
	.long	689357059                       ; 0x2916c103
	.long	1754542213                      ; 0x68943085
	.long	702963842                       ; 0x29e66082
	.long	2864311668                      ; 0xaab9ed74
	.long	1960202673                      ; 0x74d651b1
	.long	1009675673                      ; 0x3c2e6d99
	;; [unrolled: 1-line block ×5, first 2 shown]
	.long	9090161                         ; 0x8ab471
	.long	1854921599                      ; 0x6e8fdb7f
	.long	2655519695                      ; 0x9e4803cf
	;; [unrolled: 1-line block ×3, first 2 shown]
	.long	319882484                       ; 0x131104f4
	.long	1422536794                      ; 0x54ca305a
	.long	4175512633                      ; 0xf8e14439
	.long	141286453                       ; 0x86bdc35
	.long	1183670252                      ; 0x468d5fec
	.long	1789500145                      ; 0x6aa99af1
	;; [unrolled: 3-line block ×3, first 2 shown]
	.long	493805446                       ; 0x1d6edf86
	.long	1228958246                      ; 0x49406a26
	.long	837232655                       ; 0x31e7280f
	.long	2274981421                      ; 0x8799762d
	.long	2935438833                      ; 0xaef73df1
	;; [unrolled: 1-line block ×4, first 2 shown]
	.long	955772620                       ; 0x38f7eecc
	.long	134516308                       ; 0x8048e54
	.long	3576789728                      ; 0xd5317ae0
	.long	965007022                       ; 0x3984d6ae
	.long	1056542222                      ; 0x3ef98e0e
	;; [unrolled: 2-line block ×4, first 2 shown]
	.long	3205299696                      ; 0xbf0cfdf0
	.long	543679720                       ; 0x2067e4e8
	.long	1241913280                      ; 0x4a0617c0
	.long	1360146137                      ; 0x51122ed9
	;; [unrolled: 1-line block ×17, first 2 shown]
	.long	193959252                       ; 0xb8f9554
	.long	2793509934                      ; 0xa681942e
	.long	4258046618                      ; 0xfdcca29a
	;; [unrolled: 1-line block ×5, first 2 shown]
	.long	25754513                        ; 0x188fb91
	.long	1204846712                      ; 0x47d08078
	.long	1856291967                      ; 0x6ea4c47f
	;; [unrolled: 1-line block ×9, first 2 shown]
	.long	77481069                        ; 0x49e446d
	.long	969912041                       ; 0x39cfaee9
	.long	2556570543                      ; 0x98622baf
	.long	162987300                       ; 0x9b6fd24
	.long	1960844609                      ; 0x74e01d41
	.long	2973799047                      ; 0xb1409287
	.long	427583517                       ; 0x197c681d
	.long	315868734                       ; 0x12d3c63e
	.long	2542622968                      ; 0x978d58f8
	.long	3949539136                      ; 0xeb692f40
	;; [unrolled: 1-line block ×3, first 2 shown]
	.long	92839917                        ; 0x5889fed
	.long	1235059630                      ; 0x499d83ae
	.long	1533374854                      ; 0x5b657186
	.long	847792023                       ; 0x32884797
	.long	4031286530                      ; 0xf0488d02
	.long	1147875681                      ; 0x446b3161
	.long	164541100                       ; 0x9ceb2ac
	.long	1010135841                      ; 0x3c357321
	.long	143302319                       ; 0x88a9eaf
	;; [unrolled: 2-line block ×3, first 2 shown]
	.long	20896020                        ; 0x13ed914
	.long	344974153                       ; 0x148fe349
	.long	2576803233                      ; 0x9996e5a1
	.long	3430251730                      ; 0xcc757cd2
	;; [unrolled: 1-line block ×9, first 2 shown]
	.long	998215324                       ; 0x3b7f8e9c
	.long	3127793500                      ; 0xba6e575c
	.long	1759998050                      ; 0x68e77062
	;; [unrolled: 1-line block ×9, first 2 shown]
	.long	157069329                       ; 0x95cb011
	.long	390662438                       ; 0x17490926
	.long	3800994052                      ; 0xe28e9104
	.long	982000497                       ; 0x3a882371
	.long	377281730                       ; 0x167cdcc2
	.long	3251789121                      ; 0xc1d25d41
	;; [unrolled: 3-line block ×3, first 2 shown]
	.long	3394010206                      ; 0xca4c7c5e
	.long	4232159202                      ; 0xfc419fe2
	.long	468321553                       ; 0x1bea0511
	.long	2704615220                      ; 0xa1352734
	.long	681592492                       ; 0x28a046ac
	;; [unrolled: 2-line block ×3, first 2 shown]
	.long	3122841814                      ; 0xba22c8d6
	.long	2348872707                      ; 0x8c00f403
	;; [unrolled: 1-line block ×3, first 2 shown]
	.long	541354422                       ; 0x204469b6
	.long	223117443                       ; 0xd4c8083
	.long	2225009071                      ; 0x849ef1af
	.long	4230058949                      ; 0xfc2193c5
	;; [unrolled: 1-line block ×7, first 2 shown]
	.long	668143612                       ; 0x27d30ffc
	.long	1378024753                      ; 0x5222fd31
	.long	3686775275                      ; 0xdbbfb9eb
	;; [unrolled: 1-line block ×3, first 2 shown]
	.long	64834458                        ; 0x3dd4b9a
	.long	3765910650                      ; 0xe0773c7a
	.long	729116355                       ; 0x2b756ec3
	.long	3886390916                      ; 0xe7a59e84
	.long	65029451                        ; 0x3e0454b
	.long	3478506446                      ; 0xcf55cbce
	.long	3419111947                      ; 0xcbcb820b
	;; [unrolled: 1-line block ×6, first 2 shown]
	.long	155635560                       ; 0x946cf68
	.long	1088384271                      ; 0x40df6d0f
	.long	689357059                       ; 0x2916c103
	.long	1754542213                      ; 0x68943085
	;; [unrolled: 2-line block ×3, first 2 shown]
	.long	1960202673                      ; 0x74d651b1
	.long	1009675673                      ; 0x3c2e6d99
	;; [unrolled: 1-line block ×4, first 2 shown]
	.long	129749802                       ; 0x7bbd32a
	.long	9090161                         ; 0x8ab471
	.long	1854921599                      ; 0x6e8fdb7f
	.long	2655519695                      ; 0x9e4803cf
	.long	3124573588                      ; 0xba3d3594
	.long	809557750                       ; 0x3040def6
	.long	1422536794                      ; 0x54ca305a
	.long	4175512633                      ; 0xf8e14439
	.long	141286453                       ; 0x86bdc35
	.long	1183670252                      ; 0x468d5fec
	.long	1739311360                      ; 0x67abc900
	.long	850391877                       ; 0x32aff345
	.long	3190829323                      ; 0xbe30310b
	.long	2782782009                      ; 0xa5dde239
	.long	493805446                       ; 0x1d6edf86
	.long	1738527771                      ; 0x679fd41b
	.long	837232655                       ; 0x31e7280f
	.long	2274981421                      ; 0x8799762d
	.long	2935438833                      ; 0xaef73df1
	;; [unrolled: 1-line block ×4, first 2 shown]
	.long	955772620                       ; 0x38f7eecc
	.long	134516308                       ; 0x8048e54
	.long	3576789728                      ; 0xd5317ae0
	.long	965007022                       ; 0x3984d6ae
	.long	3367712327                      ; 0xc8bb3647
	;; [unrolled: 2-line block ×4, first 2 shown]
	.long	2420548306                      ; 0x9046a2d2
	.long	543679720                       ; 0x2067e4e8
	.long	1241913280                      ; 0x4a0617c0
	.long	1360146137                      ; 0x51122ed9
	;; [unrolled: 1-line block ×3, first 2 shown]
	.long	176019367                       ; 0xa7dd7a7
	.long	1169030022                      ; 0x45adfb86
	.long	2226452641                      ; 0x84b4f8a1
	.long	3172047212                      ; 0xbd11996c
	.long	1569171738                      ; 0x5d87a91a
	.long	76544055                        ; 0x48ff837
	.long	3783543297                      ; 0xe1844a01
	.long	2030783667                      ; 0x790b4cb3
	;; [unrolled: 1-line block ×8, first 2 shown]
	.long	193959252                       ; 0xb8f9554
	.long	346134252                       ; 0x14a196ec
	.long	4258046618                      ; 0xfdcca29a
	.long	2502743884                      ; 0x952cd74c
	;; [unrolled: 1-line block ×9, first 2 shown]
	.long	366578749                       ; 0x15d98c3d
	.long	3889946075                      ; 0xe7dbdddb
	.long	3303325234                      ; 0xc4e4be32
	;; [unrolled: 1-line block ×5, first 2 shown]
	.long	969912041                       ; 0x39cfaee9
	.long	2556570543                      ; 0x98622baf
	.long	162987300                       ; 0x9b6fd24
	.long	1960844609                      ; 0x74e01d41
	.long	61311938                        ; 0x3a78bc2
	.long	427583517                       ; 0x197c681d
	.long	315868734                       ; 0x12d3c63e
	.long	2542622968                      ; 0x978d58f8
	.long	3949539136                      ; 0xeb692f40
	;; [unrolled: 1-line block ×3, first 2 shown]
	.long	92839917                        ; 0x5889fed
	.long	1235059630                      ; 0x499d83ae
	.long	1533374854                      ; 0x5b657186
	.long	847792023                       ; 0x32884797
	.long	1361054176                      ; 0x512009e0
	.long	1147875681                      ; 0x446b3161
	.long	164541100                       ; 0x9ceb2ac
	.long	1010135841                      ; 0x3c357321
	.long	143302319                       ; 0x88a9eaf
	;; [unrolled: 2-line block ×3, first 2 shown]
	.long	20896020                        ; 0x13ed914
	.long	344974153                       ; 0x148fe349
	.long	2576803233                      ; 0x9996e5a1
	.long	3290873783                      ; 0xc426bfb7
	;; [unrolled: 1-line block ×6, first 2 shown]
	.long	628790408                       ; 0x257a9488
	.long	4149623645                      ; 0xf7563b5d
	.long	2109177634                      ; 0x7db77f22
	.long	998215324                       ; 0x3b7f8e9c
	.long	3127793500                      ; 0xba6e575c
	.long	2019336900                      ; 0x785ca2c4
	;; [unrolled: 1-line block ×9, first 2 shown]
	.long	157069329                       ; 0x95cb011
	.long	390662438                       ; 0x17490926
	.long	2250549235                      ; 0x8624a7f3
	.long	982000497                       ; 0x3a882371
	.long	377281730                       ; 0x167cdcc2
	.long	3251789121                      ; 0xc1d25d41
	.long	236703173                       ; 0xe1bcdc5
	.long	3487415996                      ; 0xcfddbebc
	.long	2303768414                      ; 0x8950b75e
	;; [unrolled: 1-line block ×4, first 2 shown]
	.long	468321553                       ; 0x1bea0511
	.long	2773608982                      ; 0xa551ea16
	.long	681592492                       ; 0x28a046ac
	.long	2978494251                      ; 0xb188372b
	;; [unrolled: 2-line block ×3, first 2 shown]
	.long	3647638215                      ; 0xd96a8ac7
	.long	4089094260                      ; 0xf3baa074
	.long	541354422                       ; 0x204469b6
	.long	223117443                       ; 0xd4c8083
	.long	2225009071                      ; 0x849ef1af
	.long	2829509947                      ; 0xa8a6e53b
	.long	2754981128                      ; 0xa435ad08
	.long	3897048544                      ; 0xe8483de0
	.long	3550177883                      ; 0xd39b6a5b
	.long	2461273592                      ; 0x92b40df8
	.long	282627696                       ; 0x10d88e70
	.long	668143612                       ; 0x27d30ffc
	.long	1378024753                      ; 0x5222fd31
	.long	3686775275                      ; 0xdbbfb9eb
	;; [unrolled: 1-line block ×5, first 2 shown]
	.long	729116355                       ; 0x2b756ec3
	.long	3886390916                      ; 0xe7a59e84
	.long	65029451                        ; 0x3e0454b
	.long	328554604                       ; 0x1395586c
	.long	3419111947                      ; 0xcbcb820b
	.long	1172004841                      ; 0x45db5fe9
	.long	2525409243                      ; 0x9686afdb
	.long	1677678908                      ; 0x63ff593c
	.long	1395036942                      ; 0x5326930e
	.long	155635560                       ; 0x946cf68
	.long	1088384271                      ; 0x40df6d0f
	.long	689357059                       ; 0x2916c103
	.long	1754542213                      ; 0x68943085
	.long	1076601715                      ; 0x402ba373
	;; [unrolled: 1-line block ×7, first 2 shown]
	.long	129749802                       ; 0x7bbd32a
	.long	9090161                         ; 0x8ab471
	.long	1854921599                      ; 0x6e8fdb7f
	.long	2655519695                      ; 0x9e4803cf
	;; [unrolled: 1-line block ×3, first 2 shown]
	.long	809557750                       ; 0x3040def6
	.long	1422536794                      ; 0x54ca305a
	.long	4175512633                      ; 0xf8e14439
	.long	141286453                       ; 0x86bdc35
	.long	2211497169                      ; 0x83d0c4d1
	.long	1739311360                      ; 0x67abc900
	;; [unrolled: 3-line block ×3, first 2 shown]
	.long	2694871802                      ; 0xa0a07afa
	.long	1738527771                      ; 0x679fd41b
	.long	837232655                       ; 0x31e7280f
	.long	2274981421                      ; 0x8799762d
	.long	2935438833                      ; 0xaef73df1
	;; [unrolled: 1-line block ×4, first 2 shown]
	.long	955772620                       ; 0x38f7eecc
	.long	134516308                       ; 0x8048e54
	.long	3576789728                      ; 0xd5317ae0
	.long	4045354759                      ; 0xf11f3707
	;; [unrolled: 1-line block ×3, first 2 shown]
	.long	874117013                       ; 0x3419f795
	.long	3944221200                      ; 0xeb180a10
	.long	950102624                       ; 0x38a16a60
	.long	3562634568                      ; 0xd4597d48
	.long	2420548306                      ; 0x9046a2d2
	.long	543679720                       ; 0x2067e4e8
	.long	1241913280                      ; 0x4a0617c0
	.long	1360146137                      ; 0x51122ed9
	;; [unrolled: 1-line block ×3, first 2 shown]
	.long	176019367                       ; 0xa7dd7a7
	.long	1169030022                      ; 0x45adfb86
	.long	2226452641                      ; 0x84b4f8a1
	;; [unrolled: 1-line block ×4, first 2 shown]
	.long	76544055                        ; 0x48ff837
	.long	3783543297                      ; 0xe1844a01
	.long	2030783667                      ; 0x790b4cb3
	;; [unrolled: 1-line block ×9, first 2 shown]
	.long	346134252                       ; 0x14a196ec
	.long	4258046618                      ; 0xfdcca29a
	.long	2502743884                      ; 0x952cd74c
	;; [unrolled: 1-line block ×3, first 2 shown]
	.long	79988846                        ; 0x4c4886e
	.long	3887005605                      ; 0xe7aeffa5
	.long	1204846712                      ; 0x47d08078
	;; [unrolled: 1-line block ×5, first 2 shown]
	.long	366578749                       ; 0x15d98c3d
	.long	3889946075                      ; 0xe7dbdddb
	.long	3303325234                      ; 0xc4e4be32
	;; [unrolled: 1-line block ×5, first 2 shown]
	.long	969912041                       ; 0x39cfaee9
	.long	2556570543                      ; 0x98622baf
	.long	162987300                       ; 0x9b6fd24
	.long	52882655                        ; 0x326ecdf
	.long	61311938                        ; 0x3a78bc2
	.long	427583517                       ; 0x197c681d
	.long	315868734                       ; 0x12d3c63e
	.long	2542622968                      ; 0x978d58f8
	.long	1575831590                      ; 0x5ded4826
	;; [unrolled: 1-line block ×3, first 2 shown]
	.long	92839917                        ; 0x5889fed
	.long	1235059630                      ; 0x499d83ae
	.long	1533374854                      ; 0x5b657186
	;; [unrolled: 1-line block ×5, first 2 shown]
	.long	164541100                       ; 0x9ceb2ac
	.long	1010135841                      ; 0x3c357321
	.long	2586368032                      ; 0x9a28d820
	;; [unrolled: 1-line block ×3, first 2 shown]
	.long	368616909                       ; 0x15f8a5cd
	.long	20896020                        ; 0x13ed914
	.long	344974153                       ; 0x148fe349
	.long	3445652232                      ; 0xcd607b08
	.long	3290873783                      ; 0xc426bfb7
	.long	1078575783                      ; 0x4049c2a7
	.long	2680612471                      ; 0x9fc6e677
	.long	1276425436                      ; 0x4c14b4dc
	.long	3682156544                      ; 0xdb794000
	.long	628790408                       ; 0x257a9488
	.long	4149623645                      ; 0xf7563b5d
	.long	2109177634                      ; 0x7db77f22
	.long	998215324                       ; 0x3b7f8e9c
	.long	4049708298                      ; 0xf161a50a
	.long	2019336900                      ; 0x785ca2c4
	;; [unrolled: 1-line block ×9, first 2 shown]
	.long	157069329                       ; 0x95cb011
	.long	1481222640                      ; 0x5849a9f0
	.long	2250549235                      ; 0x8624a7f3
	.long	982000497                       ; 0x3a882371
	.long	377281730                       ; 0x167cdcc2
	.long	3251789121                      ; 0xc1d25d41
	.long	3564274539                      ; 0xd472836b
	;; [unrolled: 1-line block ×8, first 2 shown]
	.long	681592492                       ; 0x28a046ac
	.long	2978494251                      ; 0xb188372b
	.long	989230484                       ; 0x3af67594
	.long	980252048                       ; 0x3a6d7590
	.long	3647638215                      ; 0xd96a8ac7
	.long	4089094260                      ; 0xf3baa074
	.long	541354422                       ; 0x204469b6
	.long	223117443                       ; 0xd4c8083
	;; [unrolled: 1-line block ×3, first 2 shown]
	.long	2829509947                      ; 0xa8a6e53b
	.long	2754981128                      ; 0xa435ad08
	;; [unrolled: 1-line block ×5, first 2 shown]
	.long	282627696                       ; 0x10d88e70
	.long	668143612                       ; 0x27d30ffc
	.long	1378024753                      ; 0x5222fd31
	.long	3686775275                      ; 0xdbbfb9eb
	.long	2728601425                      ; 0xa2a32751
	.long	1105868822                      ; 0x41ea3816
	.long	3765910650                      ; 0xe0773c7a
	.long	729116355                       ; 0x2b756ec3
	.long	3886390916                      ; 0xe7a59e84
	.long	1866378660                      ; 0x6f3eada4
	.long	328554604                       ; 0x1395586c
	.long	3419111947                      ; 0xcbcb820b
	.long	1172004841                      ; 0x45db5fe9
	;; [unrolled: 1-line block ×5, first 2 shown]
	.long	155635560                       ; 0x946cf68
	.long	1088384271                      ; 0x40df6d0f
	.long	689357059                       ; 0x2916c103
	.long	3587092123                      ; 0xd5ceae9b
	.long	1076601715                      ; 0x402ba373
	;; [unrolled: 1-line block ×11, first 2 shown]
	.long	684559293                       ; 0x28cd8bbd
	.long	3520611957                      ; 0xd1d84675
	.long	2976084366                      ; 0xb163718e
	;; [unrolled: 1-line block ×7, first 2 shown]
	.long	820829188                       ; 0x30ecdc04
	.long	1382783871                      ; 0x526b9b7f
	.long	3373481539                      ; 0xc9133e43
	;; [unrolled: 1-line block ×3, first 2 shown]
	.long	266942530                       ; 0xfe93842
	.long	1792334422                      ; 0x6ad4da56
	.long	4109859515                      ; 0xf4f77abb
	;; [unrolled: 1-line block ×4, first 2 shown]
	.long	623893785                       ; 0x252fdd19
	.long	1301686542                      ; 0x4d96290e
	.long	441704877                       ; 0x1a53e1ad
	.long	3377795902                      ; 0xc955133e
	.long	879822753                       ; 0x347107a1
	.long	329462927                       ; 0x13a3348f
	;; [unrolled: 1-line block ×3, first 2 shown]
	.long	2221828617                      ; 0x846e6a09
	.long	2996486613                      ; 0xb29ac1d5
	.long	981774202                       ; 0x3a84af7a
	.long	1032220084                      ; 0x3d866db4
	.long	1066536452                      ; 0x3f920e04
	;; [unrolled: 1-line block ×7, first 2 shown]
	.long	418696462                       ; 0x18f4cd0e
	.long	1776559103                      ; 0x69e423ff
	.long	1291965608                      ; 0x4d01d4a8
	;; [unrolled: 1-line block ×4, first 2 shown]
	.long	572114324                       ; 0x2219c594
	.long	899621592                       ; 0x359f22d8
	;; [unrolled: 1-line block ×3, first 2 shown]
	.long	3637616671                      ; 0xd8d1a01f
	.long	457287722                       ; 0x1b41a82a
	.long	3803043476                      ; 0xe2add694
	.long	408472701                       ; 0x1858cc7d
	.long	660940326                       ; 0x27652626
	.long	1209169008                      ; 0x48127470
	.long	1202511620                      ; 0x47acdf04
	;; [unrolled: 1-line block ×8, first 2 shown]
	.long	543821664                       ; 0x206a0f60
	.long	3426280682                      ; 0xcc38e4ea
	.long	1337602255                      ; 0x4fba30cf
	;; [unrolled: 1-line block ×7, first 2 shown]
	.long	673341051                       ; 0x28225e7b
	.long	1900184720                      ; 0x71428490
	.long	731675831                       ; 0x2b9c7cb7
	.long	2461790412                      ; 0x92bbf0cc
	.long	2593291320                      ; 0x9a927c38
	;; [unrolled: 1-line block ×3, first 2 shown]
	.long	863529987                       ; 0x33786c03
	.long	91627443                        ; 0x5761fb3
	.long	2437824309                      ; 0x914e3f35
	.long	2834231475                      ; 0xa8eef0b3
	;; [unrolled: 1-line block ×7, first 2 shown]
	.long	806676270                       ; 0x3014e72e
	.long	703274107                       ; 0x29eb1c7b
	.long	3756759580                      ; 0xdfeb9a1c
	.long	674737904                       ; 0x2837aef0
	.long	912015048                       ; 0x365c3ec8
	.long	1823306025                      ; 0x6cad7129
	.long	1509430520                      ; 0x59f814f8
	;; [unrolled: 1-line block ×3, first 2 shown]
	.long	290841833                       ; 0x1155e4e9
	.long	3917789380                      ; 0xe984b8c4
	.long	1022040580                      ; 0x3ceb1a04
	;; [unrolled: 1-line block ×3, first 2 shown]
	.long	334998864                       ; 0x13f7ad50
	.long	1009274987                      ; 0x3c28506b
	.long	310979037                       ; 0x128929dd
	.long	606749827                       ; 0x242a4483
	;; [unrolled: 1-line block ×3, first 2 shown]
	.long	3438438313                      ; 0xccf267a9
	.long	1840081424                      ; 0x6dad6a10
	.long	1950680845                      ; 0x7445070d
	.long	4217236364                      ; 0xfb5deb8c
	.long	1814584903                      ; 0x6c285e47
	.long	2814353208                      ; 0xa7bf9f38
	.long	194196981                       ; 0xb9335f5
	.long	1540331253                      ; 0x5bcf96f5
	.long	3135937654                      ; 0xbaea9c76
	.long	773351497                       ; 0x2e186849
	.long	1878220007                      ; 0x6ff35ce7
	.long	3097009802                      ; 0xb8989e8a
	;; [unrolled: 1-line block ×5, first 2 shown]
	.long	178612659                       ; 0xaa569b3
	.long	3656860395                      ; 0xd9f742eb
	.long	1259606652                      ; 0x4b14127c
	;; [unrolled: 1-line block ×3, first 2 shown]
	.long	488406826                       ; 0x1d1c7f2a
	.long	3640897405                      ; 0xd903af7d
	.long	3419000480                      ; 0xcbc9cea0
	.long	353909713                       ; 0x15183bd1
	.long	2996208477                      ; 0xb296835d
	.long	2862593073                      ; 0xaa9fb431
	.long	108483327                       ; 0x67752ff
	.long	648472258                       ; 0x26a6e6c2
	.long	1060249632                      ; 0x3f322020
	.long	1049865483                      ; 0x3e93ad0b
	.long	430087518                       ; 0x19a29d5e
	.long	1364157854                      ; 0x514f659e
	.long	3367631180                      ; 0xc8b9f94c
	;; [unrolled: 3-line block ×3, first 2 shown]
	.long	479172068                       ; 0x1c8f95e4
	.long	464775113                       ; 0x1bb3e7c9
	.long	1806677787                      ; 0x6bafb71b
	.long	3488082411                      ; 0xcfe7e9eb
	.long	356035738                       ; 0x1538ac9a
	.long	3080424395                      ; 0xb79b8bcb
	.long	4134646749                      ; 0xf671b3dd
	.long	369528743                       ; 0x16068fa7
	.long	1031004516                      ; 0x3d73e164
	.long	2525336414                      ; 0x9685935e
	.long	4189798138                      ; 0xf9bb3efa
	.long	3928909462                      ; 0xea2e6696
	.long	568714397                       ; 0x21e5e49d
	.long	1681832820                      ; 0x643ebb74
	.long	1753328641                      ; 0x6881ac01
	.long	827357673                       ; 0x315079e9
	;; [unrolled: 3-line block ×3, first 2 shown]
	.long	3257553606                      ; 0xc22a52c6
	.long	400882781                       ; 0x17e4fc5d
	.long	1473208110                      ; 0x57cf5f2e
	.long	4134183873                      ; 0xf66aa3c1
	;; [unrolled: 1-line block ×8, first 2 shown]
	.long	917494217                       ; 0x36afd9c9
	.long	769620837                       ; 0x2ddf7b65
	.long	3411018785                      ; 0xcb500421
	.long	2391335000                      ; 0x8e88e058
	;; [unrolled: 1-line block ×9, first 2 shown]
	.long	537787012                       ; 0x200dfa84
	.long	4271656840                      ; 0xfe9c4f88
	.long	185820273                       ; 0xb136471
	.long	1160533598                      ; 0x452c565e
	.long	1862365049                      ; 0x6f016f79
	.long	2550353307                      ; 0x98034d9b
	.long	1392072847                      ; 0x52f9588f
	.long	1870891365                      ; 0x6f838965
	.long	1517453821                      ; 0x5a7281fd
	.long	524666025                       ; 0x1f45c4a9
	.long	3645751565                      ; 0xd94dc10d
	.long	2415020247                      ; 0x8ff248d7
	;; [unrolled: 1-line block ×6, first 2 shown]
	.long	562446539                       ; 0x218640cb
	.long	750696587                       ; 0x2cbeb88b
	.long	97137475                        ; 0x5ca3343
	.long	3894066051                      ; 0xe81abb83
	.long	2239638596                      ; 0x857e2c44
	;; [unrolled: 1-line block ×4, first 2 shown]
	.long	774947039                       ; 0x2e30c0df
	.long	451287677                       ; 0x1ae61a7d
	.long	3618957054                      ; 0xd7b4e6fe
	.long	4236303539                      ; 0xfc80dcb3
	;; [unrolled: 1-line block ×4, first 2 shown]
	.long	498574915                       ; 0x1db7a643
	.long	2164122779                      ; 0x80fde49b
	.long	582902291                       ; 0x22be6213
	.long	3040883311                      ; 0xb540326f
	.long	1626221455                      ; 0x60ee2b8f
	.long	1853378                         ; 0x1c47c2
	.long	2125490000                      ; 0x7eb06750
	.long	3185055972                      ; 0xbdd818e4
	;; [unrolled: 1-line block ×3, first 2 shown]
	.long	432884530                       ; 0x19cd4b32
	.long	779476209                       ; 0x2e75dcf1
	;; [unrolled: 1-line block ×3, first 2 shown]
	.long	2488937128                      ; 0x945a2aa8
	.long	2521389012                      ; 0x964957d4
	.long	107485781                       ; 0x6681a55
	.long	2873055013                      ; 0xab3f5725
	.long	1171872946                      ; 0x45d95cb2
	;; [unrolled: 1-line block ×4, first 2 shown]
	.long	646240524                       ; 0x2684d90c
	.long	3970896645                      ; 0xecaf1305
	.long	942009076                       ; 0x3825eaf4
	.long	4069926418                      ; 0xf2962612
	.long	3129385884                      ; 0xba86a39c
	;; [unrolled: 1-line block ×3, first 2 shown]
	.long	388702536                       ; 0x172b2148
	.long	450999415                       ; 0x1ae1b477
	.long	2995728716                      ; 0xb28f314c
	.long	1687173264                      ; 0x64903890
	;; [unrolled: 1-line block ×4, first 2 shown]
	.long	190663705                       ; 0xb5d4c19
	.long	486809970                       ; 0x1d042172
	;; [unrolled: 1-line block ×3, first 2 shown]
	.long	2421764946                      ; 0x90593352
	.long	2941043524                      ; 0xaf4cc344
	;; [unrolled: 1-line block ×3, first 2 shown]
	.long	119077561                       ; 0x718fab9
	.long	1801381572                      ; 0x6b5ee6c4
	.long	2208680167                      ; 0x83a5c8e7
	;; [unrolled: 1-line block ×3, first 2 shown]
	.long	9899015                         ; 0x970c07
	.long	2455199230                      ; 0x92575dfe
	.long	3755314209                      ; 0xdfd58c21
	;; [unrolled: 1-line block ×6, first 2 shown]
	.long	821846618                       ; 0x30fc625a
	.long	2790899812                      ; 0xa659c064
	.long	863647562                       ; 0x337a374a
	.long	629585032                       ; 0x2586b488
	;; [unrolled: 1-line block ×3, first 2 shown]
	.long	1190540209                      ; 0x46f633b1
	.long	57251233                        ; 0x36995a1
	.long	2109551995                      ; 0x7dbd357b
	.long	2294881622                      ; 0x88c91d56
	;; [unrolled: 1-line block ×4, first 2 shown]
	.long	123838650                       ; 0x761a0ba
	.long	3436270690                      ; 0xccd15462
	.long	1637121394                      ; 0x61947d72
	;; [unrolled: 1-line block ×3, first 2 shown]
	.long	954001192                       ; 0x38dce728
	.long	759760236                       ; 0x2d49056c
	.long	3268295908                      ; 0xc2ce3ce4
	.long	2313083096                      ; 0x89ded8d8
	.long	630164216                       ; 0x258f8af8
	.long	2367213191                      ; 0x8d18ce87
	.long	3992059381                      ; 0xedf1fdf5
	;; [unrolled: 1-line block ×5, first 2 shown]
	.long	527547730                       ; 0x1f71bd52
	.long	1222399440                      ; 0x48dc55d0
	.long	1515078401                      ; 0x5a4e4301
	;; [unrolled: 1-line block ×3, first 2 shown]
	.long	645585788                       ; 0x267adb7c
	.long	2256370254                      ; 0x867d7a4e
	.long	3057235502                      ; 0xb639b62e
	;; [unrolled: 1-line block ×4, first 2 shown]
	.long	333440916                       ; 0x13dfe794
	.long	1873686678                      ; 0x6fae3096
	.long	2489794553                      ; 0x94673ff9
	;; [unrolled: 1-line block ×9, first 2 shown]
	.long	41030733                        ; 0x272144d
	.long	183716455                       ; 0xaf34a67
	.long	36316501                        ; 0x22a2555
	.long	1430796327                      ; 0x55483827
	.long	1884066707                      ; 0x704c9393
	;; [unrolled: 1-line block ×5, first 2 shown]
	.long	535070834                       ; 0x1fe48872
	.long	3873372533                      ; 0xe6def975
	.long	175757671                       ; 0xa79d967
	.long	3414803303                      ; 0xcb89c367
	;; [unrolled: 2-line block ×3, first 2 shown]
	.long	2950895946                      ; 0xafe3194a
	.long	977680845                       ; 0x3a4639cd
	.long	4224715886                      ; 0xfbd00c6e
	.long	2809442211                      ; 0xa774afa3
	;; [unrolled: 1-line block ×5, first 2 shown]
	.long	969203959                       ; 0x39c4e0f7
	.long	2539482914                      ; 0x975d6f22
	.long	813880136                       ; 0x3082d348
	.long	2483976489                      ; 0x940e7929
	.long	2790651795                      ; 0xa655f793
	;; [unrolled: 1-line block ×4, first 2 shown]
	.long	49280479                        ; 0x2eff5df
	.long	917494217                       ; 0x36afd9c9
	.long	769620837                       ; 0x2ddf7b65
	.long	3411018785                      ; 0xcb500421
	.long	2391335000                      ; 0x8e88e058
	;; [unrolled: 1-line block ×9, first 2 shown]
	.long	537787012                       ; 0x200dfa84
	.long	4271656840                      ; 0xfe9c4f88
	.long	185820273                       ; 0xb136471
	.long	2622722506                      ; 0x9c5391ca
	.long	1862365049                      ; 0x6f016f79
	;; [unrolled: 1-line block ×6, first 2 shown]
	.long	524666025                       ; 0x1f45c4a9
	.long	3645751565                      ; 0xd94dc10d
	.long	2415020247                      ; 0x8ff248d7
	;; [unrolled: 1-line block ×6, first 2 shown]
	.long	562446539                       ; 0x218640cb
	.long	750696587                       ; 0x2cbeb88b
	;; [unrolled: 1-line block ×3, first 2 shown]
	.long	3894066051                      ; 0xe81abb83
	.long	2239638596                      ; 0x857e2c44
	.long	3256181120                      ; 0xc2156180
	.long	3981041836                      ; 0xed49e0ac
	.long	3217398876                      ; 0xbfc59c5c
	.long	451287677                       ; 0x1ae61a7d
	.long	3618957054                      ; 0xd7b4e6fe
	.long	4236303539                      ; 0xfc80dcb3
	;; [unrolled: 1-line block ×4, first 2 shown]
	.long	498574915                       ; 0x1db7a643
	.long	2164122779                      ; 0x80fde49b
	.long	582902291                       ; 0x22be6213
	.long	3040883311                      ; 0xb540326f
	.long	3101287841                      ; 0xb8d9e5a1
	.long	1853378                         ; 0x1c47c2
	.long	2125490000                      ; 0x7eb06750
	.long	3185055972                      ; 0xbdd818e4
	;; [unrolled: 1-line block ×4, first 2 shown]
	.long	779476209                       ; 0x2e75dcf1
	.long	124284956                       ; 0x768701c
	.long	2488937128                      ; 0x945a2aa8
	.long	2521389012                      ; 0x964957d4
	.long	338597864                       ; 0x142e97e8
	.long	2873055013                      ; 0xab3f5725
	.long	1171872946                      ; 0x45d95cb2
	;; [unrolled: 1-line block ×6, first 2 shown]
	.long	942009076                       ; 0x3825eaf4
	.long	4069926418                      ; 0xf2962612
	.long	3129385884                      ; 0xba86a39c
	;; [unrolled: 1-line block ×3, first 2 shown]
	.long	388702536                       ; 0x172b2148
	.long	450999415                       ; 0x1ae1b477
	.long	2995728716                      ; 0xb28f314c
	.long	1687173264                      ; 0x64903890
	.long	157685189                       ; 0x96615c5
	.long	2648078738                      ; 0x9dd67992
	.long	190663705                       ; 0xb5d4c19
	.long	486809970                       ; 0x1d042172
	.long	424002670                       ; 0x1945c46e
	.long	979986388                       ; 0x3a6967d4
	.long	2941043524                      ; 0xaf4cc344
	.long	3841512738                      ; 0xe4f8d522
	.long	119077561                       ; 0x718fab9
	.long	1801381572                      ; 0x6b5ee6c4
	.long	2668625968                      ; 0x9f100030
	;; [unrolled: 1-line block ×3, first 2 shown]
	.long	9899015                         ; 0x970c07
	.long	2455199230                      ; 0x92575dfe
	.long	3755314209                      ; 0xdfd58c21
	;; [unrolled: 1-line block ×6, first 2 shown]
	.long	821846618                       ; 0x30fc625a
	.long	505633792                       ; 0x1e235c00
	;; [unrolled: 1-line block ×5, first 2 shown]
	.long	1190540209                      ; 0x46f633b1
	.long	2067402799                      ; 0x7b3a102f
	;; [unrolled: 1-line block ×10, first 2 shown]
	.long	954001192                       ; 0x38dce728
	.long	3206166733                      ; 0xbf1a38cd
	.long	3268295908                      ; 0xc2ce3ce4
	;; [unrolled: 1-line block ×3, first 2 shown]
	.long	630164216                       ; 0x258f8af8
	.long	2367213191                      ; 0x8d18ce87
	.long	3007494680                      ; 0xb342ba18
	;; [unrolled: 1-line block ×5, first 2 shown]
	.long	527547730                       ; 0x1f71bd52
	.long	4047406592                      ; 0xf13e8600
	.long	1515078401                      ; 0x5a4e4301
	;; [unrolled: 1-line block ×3, first 2 shown]
	.long	645585788                       ; 0x267adb7c
	.long	2256370254                      ; 0x867d7a4e
	.long	13805572                        ; 0xd2a804
	.long	2870727428                      ; 0xab1bd304
	.long	2785498804                      ; 0xa60756b4
	.long	333440916                       ; 0x13dfe794
	.long	1873686678                      ; 0x6fae3096
	.long	1928222740                      ; 0x72ee5814
	;; [unrolled: 1-line block ×9, first 2 shown]
	.long	41030733                        ; 0x272144d
	.long	183716455                       ; 0xaf34a67
	.long	4064095256                      ; 0xf23d2c18
	.long	1430796327                      ; 0x55483827
	;; [unrolled: 1-line block ×5, first 2 shown]
	.long	985592757                       ; 0x3abef3b5
	.long	535070834                       ; 0x1fe48872
	.long	3873372533                      ; 0xe6def975
	.long	175757671                       ; 0xa79d967
	.long	3414803303                      ; 0xcb89c367
	.long	2159028553                      ; 0x80b02949
	;; [unrolled: 1-line block ×4, first 2 shown]
	.long	977680845                       ; 0x3a4639cd
	.long	4224715886                      ; 0xfbd00c6e
	.long	345462057                       ; 0x14975529
	.long	4044727083                      ; 0xf115a32b
	.long	3035532020                      ; 0xb4ee8af4
	;; [unrolled: 1-line block ×3, first 2 shown]
	.long	969203959                       ; 0x39c4e0f7
	.long	984166534                       ; 0x3aa93086
	;; [unrolled: 1-line block ×3, first 2 shown]
	.long	2483976489                      ; 0x940e7929
	.long	2790651795                      ; 0xa655f793
	;; [unrolled: 1-line block ×4, first 2 shown]
	.long	49280479                        ; 0x2eff5df
	.long	917494217                       ; 0x36afd9c9
	.long	769620837                       ; 0x2ddf7b65
	.long	3411018785                      ; 0xcb500421
	.long	3216598401                      ; 0xbfb96581
	;; [unrolled: 1-line block ×9, first 2 shown]
	.long	537787012                       ; 0x200dfa84
	.long	4271656840                      ; 0xfe9c4f88
	.long	220045511                       ; 0xd1da0c7
	.long	2622722506                      ; 0x9c5391ca
	.long	1862365049                      ; 0x6f016f79
	;; [unrolled: 1-line block ×6, first 2 shown]
	.long	524666025                       ; 0x1f45c4a9
	.long	3645751565                      ; 0xd94dc10d
	.long	2415020247                      ; 0x8ff248d7
	.long	252304106                       ; 0xf09daea
	.long	1295777418                      ; 0x4d3bfe8a
	.long	2130267479                      ; 0x7ef94d57
	;; [unrolled: 1-line block ×3, first 2 shown]
	.long	562446539                       ; 0x218640cb
	.long	80437039                        ; 0x4cb5f2f
	.long	249830932                       ; 0xee41e14
	.long	3894066051                      ; 0xe81abb83
	.long	2239638596                      ; 0x857e2c44
	;; [unrolled: 1-line block ×3, first 2 shown]
	.long	117173223                       ; 0x6fbebe7
	.long	3217398876                      ; 0xbfc59c5c
	.long	451287677                       ; 0x1ae61a7d
	.long	3618957054                      ; 0xd7b4e6fe
	.long	4236303539                      ; 0xfc80dcb3
	;; [unrolled: 1-line block ×4, first 2 shown]
	.long	498574915                       ; 0x1db7a643
	.long	2164122779                      ; 0x80fde49b
	.long	582902291                       ; 0x22be6213
	.long	288631030                       ; 0x113428f6
	.long	3101287841                      ; 0xb8d9e5a1
	.long	1853378                         ; 0x1c47c2
	.long	2125490000                      ; 0x7eb06750
	.long	3185055972                      ; 0xbdd818e4
	.long	824635664                       ; 0x3126f110
	.long	1128474163                      ; 0x43432633
	.long	779476209                       ; 0x2e75dcf1
	.long	124284956                       ; 0x768701c
	.long	2488937128                      ; 0x945a2aa8
	.long	1231646648                      ; 0x49696fb8
	.long	338597864                       ; 0x142e97e8
	.long	2873055013                      ; 0xab3f5725
	.long	1171872946                      ; 0x45d95cb2
	;; [unrolled: 1-line block ×3, first 2 shown]
	.long	708957725                       ; 0x2a41d61d
	.long	1557892392                      ; 0x5cdb8d28
	.long	3970896645                      ; 0xecaf1305
	.long	942009076                       ; 0x3825eaf4
	.long	4069926418                      ; 0xf2962612
	.long	2286522565                      ; 0x884990c5
	;; [unrolled: 1-line block ×3, first 2 shown]
	.long	388702536                       ; 0x172b2148
	.long	450999415                       ; 0x1ae1b477
	.long	2995728716                      ; 0xb28f314c
	.long	2523361978                      ; 0x966772ba
	.long	157685189                       ; 0x96615c5
	.long	2648078738                      ; 0x9dd67992
	.long	190663705                       ; 0xb5d4c19
	.long	486809970                       ; 0x1d042172
	;; [unrolled: 1-line block ×4, first 2 shown]
	.long	2941043524                      ; 0xaf4cc344
	.long	3841512738                      ; 0xe4f8d522
	.long	119077561                       ; 0x718fab9
	.long	3762447035                      ; 0xe04262bb
	.long	2668625968                      ; 0x9f100030
	;; [unrolled: 1-line block ×3, first 2 shown]
	.long	9899015                         ; 0x970c07
	.long	2455199230                      ; 0x92575dfe
	.long	3532439568                      ; 0xd28cc010
	;; [unrolled: 1-line block ×7, first 2 shown]
	.long	505633792                       ; 0x1e235c00
	.long	863647562                       ; 0x337a374a
	;; [unrolled: 1-line block ×4, first 2 shown]
	.long	2618618630                      ; 0x9c14f306
	.long	2067402799                      ; 0x7b3a102f
	;; [unrolled: 1-line block ×14, first 2 shown]
	.long	630164216                       ; 0x258f8af8
	.long	12196305                        ; 0xba19d1
	.long	3007494680                      ; 0xb342ba18
	.long	3292952769                      ; 0xc44678c1
	.long	2040774258                      ; 0x79a3be72
	.long	1420209005                      ; 0x54a6ab6d
	.long	2609377752                      ; 0x9b87f1d8
	.long	4047406592                      ; 0xf13e8600
	.long	1515078401                      ; 0x5a4e4301
	.long	2005580991                      ; 0x778abcbf
	.long	645585788                       ; 0x267adb7c
	.long	865985176                       ; 0x339de298
	.long	13805572                        ; 0xd2a804
	.long	2870727428                      ; 0xab1bd304
	.long	2785498804                      ; 0xa60756b4
	.long	333440916                       ; 0x13dfe794
	.long	3735553268                      ; 0xdea804f4
	.long	1928222740                      ; 0x72ee5814
	;; [unrolled: 1-line block ×5, first 2 shown]
	.long	501640466                       ; 0x1de66d12
	.long	2971423693                      ; 0xb11c53cd
	.long	1428788181                      ; 0x552993d5
	;; [unrolled: 1-line block ×3, first 2 shown]
	.long	41030733                        ; 0x272144d
	.long	97561214                        ; 0x5d0aa7e
	.long	4064095256                      ; 0xf23d2c18
	.long	1430796327                      ; 0x55483827
	;; [unrolled: 1-line block ×5, first 2 shown]
	.long	985592757                       ; 0x3abef3b5
	.long	535070834                       ; 0x1fe48872
	.long	3873372533                      ; 0xe6def975
	.long	175757671                       ; 0xa79d967
	.long	3856277268                      ; 0xe5da1f14
	.long	2159028553                      ; 0x80b02949
	;; [unrolled: 1-line block ×4, first 2 shown]
	.long	977680845                       ; 0x3a4639cd
	.long	3313441827                      ; 0xc57f1c23
	.long	345462057                       ; 0x14975529
	.long	4044727083                      ; 0xf115a32b
	.long	3035532020                      ; 0xb4ee8af4
	;; [unrolled: 1-line block ×4, first 2 shown]
	.long	984166534                       ; 0x3aa93086
	.long	813880136                       ; 0x3082d348
	.long	2483976489                      ; 0x940e7929
	.long	2790651795                      ; 0xa655f793
	.long	3733649754                      ; 0xde8af95a
	.long	1080001158                      ; 0x405f8286
	.long	49280479                        ; 0x2eff5df
	.long	917494217                       ; 0x36afd9c9
	.long	769620837                       ; 0x2ddf7b65
	.long	3969566450                      ; 0xec9ac6f2
	.long	3216598401                      ; 0xbfb96581
	.long	3036738936                      ; 0xb500f578
	.long	3356773416                      ; 0xc8144c28
	.long	1288706527                      ; 0x4cd019df
	.long	2444128005                      ; 0x91ae6f05
	.long	3311472057                      ; 0xc5610db9
	.long	2294957038                      ; 0x88ca43ee
	.long	3674654381                      ; 0xdb06c6ad
	.long	537787012                       ; 0x200dfa84
	.long	4166109669                      ; 0xf851c9e5
	.long	220045511                       ; 0xd1da0c7
	.long	2622722506                      ; 0x9c5391ca
	.long	1862365049                      ; 0x6f016f79
	;; [unrolled: 1-line block ×6, first 2 shown]
	.long	524666025                       ; 0x1f45c4a9
	.long	3645751565                      ; 0xd94dc10d
	.long	664164441                       ; 0x27965859
	.long	252304106                       ; 0xf09daea
	.long	1295777418                      ; 0x4d3bfe8a
	.long	2130267479                      ; 0x7ef94d57
	;; [unrolled: 1-line block ×4, first 2 shown]
	.long	80437039                        ; 0x4cb5f2f
	.long	249830932                       ; 0xee41e14
	.long	3894066051                      ; 0xe81abb83
	.long	2239638596                      ; 0x857e2c44
	;; [unrolled: 1-line block ×3, first 2 shown]
	.long	117173223                       ; 0x6fbebe7
	.long	3217398876                      ; 0xbfc59c5c
	.long	451287677                       ; 0x1ae61a7d
	.long	3618957054                      ; 0xd7b4e6fe
	.long	3066415327                      ; 0xb6c5c8df
	;; [unrolled: 1-line block ×4, first 2 shown]
	.long	498574915                       ; 0x1db7a643
	.long	2164122779                      ; 0x80fde49b
	.long	3541914330                      ; 0xd31d52da
	.long	288631030                       ; 0x113428f6
	.long	3101287841                      ; 0xb8d9e5a1
	.long	1853378                         ; 0x1c47c2
	.long	2125490000                      ; 0x7eb06750
	.long	2207189978                      ; 0x838f0bda
	.long	824635664                       ; 0x3126f110
	.long	1128474163                      ; 0x43432633
	.long	779476209                       ; 0x2e75dcf1
	.long	124284956                       ; 0x768701c
	.long	2117633906                      ; 0x7e388772
	.long	1231646648                      ; 0x49696fb8
	.long	338597864                       ; 0x142e97e8
	.long	2873055013                      ; 0xab3f5725
	.long	1171872946                      ; 0x45d95cb2
	.long	891038594                       ; 0x351c2b82
	.long	708957725                       ; 0x2a41d61d
	.long	1557892392                      ; 0x5cdb8d28
	.long	3970896645                      ; 0xecaf1305
	.long	942009076                       ; 0x3825eaf4
	.long	42952651                        ; 0x28f67cb
	.long	2286522565                      ; 0x884990c5
	.long	2688433076                      ; 0xa03e3bb4
	.long	388702536                       ; 0x172b2148
	.long	450999415                       ; 0x1ae1b477
	.long	2986730356                      ; 0xb205e374
	.long	2523361978                      ; 0x966772ba
	.long	157685189                       ; 0x96615c5
	.long	2648078738                      ; 0x9dd67992
	.long	190663705                       ; 0xb5d4c19
	;; [unrolled: 2-line block ×3, first 2 shown]
	.long	979986388                       ; 0x3a6967d4
	.long	2941043524                      ; 0xaf4cc344
	.long	3841512738                      ; 0xe4f8d522
	;; [unrolled: 1-line block ×6, first 2 shown]
	.long	9899015                         ; 0x970c07
	.long	2599582093                      ; 0x9af2798d
	.long	3532439568                      ; 0xd28cc010
	;; [unrolled: 1-line block ×5, first 2 shown]
	.long	811001941                       ; 0x3056e855
	.long	2242036665                      ; 0x85a2c3b9
	.long	505633792                       ; 0x1e235c00
	.long	863647562                       ; 0x337a374a
	;; [unrolled: 1-line block ×3, first 2 shown]
	.long	2722320710                      ; 0xa2435146
	.long	2618618630                      ; 0x9c14f306
	;; [unrolled: 1-line block ×16, first 2 shown]
	.long	12196305                        ; 0xba19d1
	.long	3007494680                      ; 0xb342ba18
	.long	3292952769                      ; 0xc44678c1
	;; [unrolled: 1-line block ×3, first 2 shown]
	.long	520848705                       ; 0x1f0b8541
	.long	2609377752                      ; 0x9b87f1d8
	.long	4047406592                      ; 0xf13e8600
	;; [unrolled: 1-line block ×5, first 2 shown]
	.long	865985176                       ; 0x339de298
	.long	13805572                        ; 0xd2a804
	.long	2870727428                      ; 0xab1bd304
	.long	2785498804                      ; 0xa60756b4
	;; [unrolled: 1-line block ×8, first 2 shown]
	.long	501640466                       ; 0x1de66d12
	.long	2971423693                      ; 0xb11c53cd
	.long	1428788181                      ; 0x552993d5
	;; [unrolled: 1-line block ×4, first 2 shown]
	.long	97561214                        ; 0x5d0aa7e
	.long	4064095256                      ; 0xf23d2c18
	.long	1430796327                      ; 0x55483827
	;; [unrolled: 1-line block ×5, first 2 shown]
	.long	985592757                       ; 0x3abef3b5
	.long	535070834                       ; 0x1fe48872
	.long	3873372533                      ; 0xe6def975
	.long	770732059                       ; 0x2df0701b
	.long	3856277268                      ; 0xe5da1f14
	.long	2159028553                      ; 0x80b02949
	;; [unrolled: 1-line block ×4, first 2 shown]
	.long	33753949                        ; 0x2030b5d
	.long	3313441827                      ; 0xc57f1c23
	.long	345462057                       ; 0x14975529
	.long	4044727083                      ; 0xf115a32b
	.long	3035532020                      ; 0xb4ee8af4
	;; [unrolled: 1-line block ×6, first 2 shown]
	.long	713457907                       ; 0x2a8680f3
	.long	1577198020                      ; 0x5e0221c4
	.long	1719946821                      ; 0x66844e45
	;; [unrolled: 1-line block ×4, first 2 shown]
	.long	703663722                       ; 0x29f10e6a
	.long	1943886497                      ; 0x73dd5aa1
	.long	2916371044                      ; 0xadd44a64
	;; [unrolled: 1-line block ×3, first 2 shown]
	.long	109438187                       ; 0x685e4eb
	.long	195575943                       ; 0xba84087
	.long	2572727533                      ; 0x9958b4ed
	.long	2421761970                      ; 0x905927b2
	;; [unrolled: 1-line block ×15, first 2 shown]
	.long	848549431                       ; 0x3293d637
	.long	1893685820                      ; 0x70df5a3c
	.long	3510068298                      ; 0xd137644a
	;; [unrolled: 1-line block ×11, first 2 shown]
	.long	796514731                       ; 0x2f79d9ab
	.long	1985886833                      ; 0x765e3a71
	.long	88296218                        ; 0x5434b1a
	.long	3032898657                      ; 0xb4c65c61
	.long	4101301361                      ; 0xf474e471
	;; [unrolled: 1-line block ×3, first 2 shown]
	.long	237792475                       ; 0xe2c6cdb
	.long	1029399834                      ; 0x3d5b651a
	.long	1708840018                      ; 0x65dad452
	;; [unrolled: 1-line block ×18, first 2 shown]
	.long	811404758                       ; 0x305d0dd6
	.long	784379778                       ; 0x2ec0af82
	.long	4283689136                      ; 0xff53e8b0
	.long	405168660                       ; 0x18266214
	.long	3873488622                      ; 0xe6e0beee
	.long	486946690                       ; 0x1d063782
	.long	347427153                       ; 0x14b55151
	.long	2139072474                      ; 0x7f7fa7da
	.long	1143349522                      ; 0x44262112
	;; [unrolled: 1-line block ×10, first 2 shown]
	.long	175937153                       ; 0xa7c9681
	.long	433252852                       ; 0x19d2e9f4
	.long	3232065906                      ; 0xc0a56972
	.long	1111895932                      ; 0x42462f7c
	;; [unrolled: 1-line block ×9, first 2 shown]
	.long	393314401                       ; 0x17718061
	.long	3625733631                      ; 0xd81c4dff
	.long	1073779513                      ; 0x40009339
	;; [unrolled: 1-line block ×12, first 2 shown]
	.long	959734060                       ; 0x3934612c
	.long	842315676                       ; 0x3234b79c
	;; [unrolled: 1-line block ×4, first 2 shown]
	.long	1972100601                      ; 0x758bddf9
	.long	1456042517                      ; 0x56c97215
	;; [unrolled: 1-line block ×4, first 2 shown]
	.long	498998655                       ; 0x1dbe1d7f
	.long	4123310742                      ; 0xf5c4ba96
	.long	1801424182                      ; 0x6b5f8d36
	.long	777808179                       ; 0x2e5c6933
	.long	655425670                       ; 0x27110086
	;; [unrolled: 1-line block ×3, first 2 shown]
	.long	2136252742                      ; 0x7f54a146
	.long	1283378143                      ; 0x4c7ecbdf
	.long	639191135                       ; 0x2619485f
	.long	3132375783                      ; 0xbab442e7
	.long	276649124                       ; 0x107d54a4
	.long	2036776039                      ; 0x7966bc67
	.long	3352396498                      ; 0xc7d182d2
	;; [unrolled: 1-line block ×10, first 2 shown]
	.long	769232312                       ; 0x2dd98db8
	.long	2168822980                      ; 0x81459cc4
	.long	3715831945                      ; 0xdd7b1889
	.long	453874622                       ; 0x1b0d93be
	.long	3351529191                      ; 0xc7c446e7
	.long	3256151193                      ; 0xc214ec99
	;; [unrolled: 3-line block ×3, first 2 shown]
	.long	1518733915                      ; 0x5a860a5b
	.long	3194328753                      ; 0xbe6596b1
	;; [unrolled: 1-line block ×7, first 2 shown]
	.long	445717950                       ; 0x1a911dbe
	.long	3595016420                      ; 0xd64798e4
	.long	3673970127                      ; 0xdafc55cf
	;; [unrolled: 1-line block ×3, first 2 shown]
	.long	494944945                       ; 0x1d8042b1
	.long	152508312                       ; 0x9171798
	.long	4160926899                      ; 0xf802b4b3
	.long	3225674336                      ; 0xc043e260
	.long	827428943                       ; 0x3151904f
	.long	2858523441                      ; 0xaa619b31
	.long	2447266124                      ; 0x91de514c
	;; [unrolled: 1-line block ×4, first 2 shown]
	.long	776912458                       ; 0x2e4ebe4a
	.long	279091824                       ; 0x10a29a70
	.long	1152725492                      ; 0x44b531f4
	.long	3903457284                      ; 0xe8aa0804
	;; [unrolled: 1-line block ×4, first 2 shown]
	.long	839506039                       ; 0x3209d877
	.long	3052513014                      ; 0xb5f1a6f6
	.long	28550291                        ; 0x1b3a493
	.long	2597814974                      ; 0x9ad782be
	.long	2328446377                      ; 0x8ac945a9
	;; [unrolled: 1-line block ×7, first 2 shown]
	.long	997698792                       ; 0x3b77ace8
	.long	931473445                       ; 0x37852825
	.long	3091440507                      ; 0xb843a37b
	.long	820119215                       ; 0x30e206af
	.long	3586778616                      ; 0xd5c9e5f8
	.long	1993126242                      ; 0x76ccb162
	;; [unrolled: 1-line block ×5, first 2 shown]
	.long	65722921                        ; 0x3eada29
	.long	746724958                       ; 0x2c821e5e
	.long	461423533                       ; 0x1b80c3ad
	.long	1582298542                      ; 0x5e4ff5ae
	.long	1564918930                      ; 0x5d46c492
	.long	3710935369                      ; 0xdd306149
	.long	419349792                       ; 0x18fec520
	.long	3914061713                      ; 0xe94bd791
	.long	2279209938                      ; 0x87d9fbd2
	.long	770031171                       ; 0x2de5be43
	.long	2062767935                      ; 0x7af3573f
	.long	3373230309                      ; 0xc90f68e5
	;; [unrolled: 1-line block ×7, first 2 shown]
	.long	501370035                       ; 0x1de24cb3
	.long	2554730117                      ; 0x98461685
	.long	352450195                       ; 0x1501f693
	.long	1002557127                      ; 0x3bc1cec7
	.long	2813224858                      ; 0xa7ae679a
	;; [unrolled: 1-line block ×3, first 2 shown]
	.long	290476252                       ; 0x115050dc
	.long	4216846311                      ; 0xfb57f7e7
	.long	1187381982                      ; 0x46c602de
	.long	3131323304                      ; 0xbaa433a8
	.long	1094330039                      ; 0x413a26b7
	.long	2646234280                      ; 0x9dba54a8
	.long	655242013                       ; 0x270e331d
	.long	1152156402                      ; 0x44ac82f2
	.long	3658526705                      ; 0xda10aff1
	;; [unrolled: 1-line block ×3, first 2 shown]
	.long	693375321                       ; 0x29541159
	.long	2120064836                      ; 0x7e5d9f44
	.long	3726555752                      ; 0xde1eba68
	.long	97387177                        ; 0x5ce02a9
	.long	546586686                       ; 0x2094403e
	.long	1013492636                      ; 0x3c68ab9c
	.long	3874404446                      ; 0xe6eeb85e
	.long	440995849                       ; 0x1a491009
	.long	1929251266                      ; 0x72fe09c2
	.long	95137166                        ; 0x5abad8e
	.long	564969023                       ; 0x21acbe3f
	.long	3559119399                      ; 0xd423da27
	.long	3855477390                      ; 0xe5cdea8e
	.long	2439885481                      ; 0x916db2a9
	.long	2492213232                      ; 0x948c27f0
	.long	2611214170                      ; 0x9ba3f75a
	.long	2054191666                      ; 0x7a707a32
	.long	2778642234                      ; 0xa59eb73a
	.long	2267416277                      ; 0x872606d5
	.long	2194315209                      ; 0x82ca97c9
	.long	1360165075                      ; 0x511278d3
	.long	1018128176                      ; 0x3caf6730
	.long	2841084399                      ; 0xa95781ef
	.long	3028189871                      ; 0xb47e82af
	.long	3631770575                      ; 0xd8786bcf
	.long	541021087                       ; 0x203f539f
	.long	1091467742                      ; 0x410e79de
	.long	2743780329                      ; 0xa38ac3e9
	;; [unrolled: 1-line block ×4, first 2 shown]
	.long	279582475                       ; 0x10aa170b
	.long	2712119598                      ; 0xa1a7a92e
	.long	3296319359                      ; 0xc479d77f
	;; [unrolled: 1-line block ×6, first 2 shown]
	.long	740953233                       ; 0x2c2a0c91
	.long	3351500634                      ; 0xc7c3d75a
	.long	1791054313                      ; 0x6ac151e9
	.long	3355533193                      ; 0xc8015f89
	.long	610062694                       ; 0x245cd166
	.long	3089981426                      ; 0xb82d5ff2
	.long	3469441840                      ; 0xcecb7b30
	.long	3225672476                      ; 0xc043db1c
	.long	2223653903                      ; 0x848a440f
	.long	2593994385                      ; 0x9a9d3691
	.long	548784340                       ; 0x20b5c8d4
	.long	549871569                       ; 0x20c65fd1
	;; [unrolled: 1-line block ×3, first 2 shown]
	.long	1593939385                      ; 0x5f0195b9
	.long	645229999                       ; 0x26756daf
	.long	1412095765                      ; 0x542adf15
	.long	2814231763                      ; 0xa7bdc4d3
	.long	3619658094                      ; 0xd7bf996e
	.long	877462820                       ; 0x344d0524
	.long	2198765077                      ; 0x830e7e15
	.long	1845119421                      ; 0x6dfa49bd
	;; [unrolled: 1-line block ×4, first 2 shown]
	.long	848707034                       ; 0x32963dda
	.long	4144513299                      ; 0xf7084113
	.long	3231318896                      ; 0xc09a0370
	;; [unrolled: 1-line block ×3, first 2 shown]
	.long	693621410                       ; 0x2957d2a2
	.long	2821661683                      ; 0xa82f23f3
	.long	4236142563                      ; 0xfc7e67e3
	.long	680649431                       ; 0x2891e2d7
	.long	3290999942                      ; 0xc428ac86
	.long	200856634                       ; 0xbf8d43a
	.long	617766412                       ; 0x24d25e0c
	.long	3194332974                      ; 0xbe65a72e
	.long	4102392657                      ; 0xf4858b51
	;; [unrolled: 1-line block ×4, first 2 shown]
	.long	793967937                       ; 0x2f52fd41
	.long	2149374605                      ; 0x801cda8d
	.long	3736514467                      ; 0xdeb6afa3
	;; [unrolled: 1-line block ×4, first 2 shown]
	.long	98278184                        ; 0x5db9b28
	.long	1497045279                      ; 0x593b191f
	.long	2945126332                      ; 0xaf8b0fbc
	;; [unrolled: 1-line block ×5, first 2 shown]
	.long	56752862                        ; 0x361fade
	.long	864909862                       ; 0x338d7a26
	.long	625377571                       ; 0x25468123
	.long	2266362085                      ; 0x8715f0e5
	.long	1050287398                      ; 0x3e9a1d26
	.long	925722519                       ; 0x372d6797
	.long	1008109592                      ; 0x3c168818
	.long	2819528345                      ; 0xa80e9699
	;; [unrolled: 1-line block ×6, first 2 shown]
	.long	827428943                       ; 0x3151904f
	.long	2858523441                      ; 0xaa619b31
	.long	2447266124                      ; 0x91de514c
	;; [unrolled: 1-line block ×4, first 2 shown]
	.long	776912458                       ; 0x2e4ebe4a
	.long	279091824                       ; 0x10a29a70
	.long	1152725492                      ; 0x44b531f4
	.long	1271286102                      ; 0x4bc64956
	.long	3987010398                      ; 0xeda4f35e
	.long	3996115574                      ; 0xee2fe276
	.long	839506039                       ; 0x3209d877
	.long	3052513014                      ; 0xb5f1a6f6
	.long	1036957208                      ; 0x3dceb618
	;; [unrolled: 1-line block ×9, first 2 shown]
	.long	997698792                       ; 0x3b77ace8
	.long	931473445                       ; 0x37852825
	.long	2727078785                      ; 0xa28beb81
	.long	820119215                       ; 0x30e206af
	.long	3586778616                      ; 0xd5c9e5f8
	.long	1993126242                      ; 0x76ccb162
	;; [unrolled: 1-line block ×5, first 2 shown]
	.long	65722921                        ; 0x3eada29
	.long	746724958                       ; 0x2c821e5e
	.long	461423533                       ; 0x1b80c3ad
	.long	2335086228                      ; 0x8b2e9694
	.long	1564918930                      ; 0x5d46c492
	;; [unrolled: 1-line block ×3, first 2 shown]
	.long	419349792                       ; 0x18fec520
	.long	3914061713                      ; 0xe94bd791
	.long	1136716661                      ; 0x43c0eb75
	.long	770031171                       ; 0x2de5be43
	.long	2062767935                      ; 0x7af3573f
	.long	3373230309                      ; 0xc90f68e5
	.long	3582372364                      ; 0xd586aa0c
	.long	4100328450                      ; 0xf4660c02
	.long	3352859025                      ; 0xc7d89191
	.long	1262632952                      ; 0x4b423ff8
	.long	3140021482                      ; 0xbb28ecea
	.long	501370035                       ; 0x1de24cb3
	.long	2579000299                      ; 0x99b86beb
	.long	352450195                       ; 0x1501f693
	.long	1002557127                      ; 0x3bc1cec7
	.long	2813224858                      ; 0xa7ae679a
	;; [unrolled: 1-line block ×9, first 2 shown]
	.long	655242013                       ; 0x270e331d
	.long	1152156402                      ; 0x44ac82f2
	.long	3658526705                      ; 0xda10aff1
	;; [unrolled: 1-line block ×6, first 2 shown]
	.long	97387177                        ; 0x5ce02a9
	.long	546586686                       ; 0x2094403e
	.long	584864345                       ; 0x22dc5259
	.long	3874404446                      ; 0xe6eeb85e
	.long	440995849                       ; 0x1a491009
	.long	1929251266                      ; 0x72fe09c2
	.long	95137166                        ; 0x5abad8e
	.long	823950215                       ; 0x311c7b87
	.long	3559119399                      ; 0xd423da27
	.long	3855477390                      ; 0xe5cdea8e
	;; [unrolled: 1-line block ×9, first 2 shown]
	.long	573807317                       ; 0x22339ad5
	.long	1018128176                      ; 0x3caf6730
	.long	2841084399                      ; 0xa95781ef
	;; [unrolled: 1-line block ×16, first 2 shown]
	.long	740953233                       ; 0x2c2a0c91
	.long	3351500634                      ; 0xc7c3d75a
	.long	1791054313                      ; 0x6ac151e9
	;; [unrolled: 1-line block ×3, first 2 shown]
	.long	610062694                       ; 0x245cd166
	.long	3089981426                      ; 0xb82d5ff2
	.long	3469441840                      ; 0xcecb7b30
	;; [unrolled: 1-line block ×5, first 2 shown]
	.long	548784340                       ; 0x20b5c8d4
	.long	549871569                       ; 0x20c65fd1
	;; [unrolled: 1-line block ×3, first 2 shown]
	.long	1825306744                      ; 0x6ccbf878
	.long	645229999                       ; 0x26756daf
	.long	1412095765                      ; 0x542adf15
	.long	2814231763                      ; 0xa7bdc4d3
	;; [unrolled: 1-line block ×8, first 2 shown]
	.long	268197516                       ; 0xffc5e8c
	.long	4144513299                      ; 0xf7084113
	.long	3231318896                      ; 0xc09a0370
	;; [unrolled: 1-line block ×3, first 2 shown]
	.long	693621410                       ; 0x2957d2a2
	.long	2786831464                      ; 0xa61bac68
	.long	4236142563                      ; 0xfc7e67e3
	.long	680649431                       ; 0x2891e2d7
	.long	3290999942                      ; 0xc428ac86
	.long	200856634                       ; 0xbf8d43a
	.long	3822069622                      ; 0xe3d02776
	.long	3194332974                      ; 0xbe65a72e
	;; [unrolled: 1-line block ×5, first 2 shown]
	.long	525501162                       ; 0x1f5282ea
	.long	2149374605                      ; 0x801cda8d
	.long	3736514467                      ; 0xdeb6afa3
	;; [unrolled: 1-line block ×10, first 2 shown]
	.long	56752862                        ; 0x361fade
	.long	864909862                       ; 0x338d7a26
	.long	625377571                       ; 0x25468123
	.long	2266362085                      ; 0x8715f0e5
	.long	2258093843                      ; 0x8697c713
	.long	925722519                       ; 0x372d6797
	.long	1008109592                      ; 0x3c168818
	.long	2819528345                      ; 0xa80e9699
	;; [unrolled: 1-line block ×6, first 2 shown]
	.long	827428943                       ; 0x3151904f
	.long	2858523441                      ; 0xaa619b31
	.long	992128922                       ; 0x3b22af9a
	.long	2186287936                      ; 0x82501b40
	.long	2299756421                      ; 0x89137f85
	.long	776912458                       ; 0x2e4ebe4a
	.long	279091824                       ; 0x10a29a70
	.long	2108721702                      ; 0x7db08a26
	.long	1271286102                      ; 0x4bc64956
	;; [unrolled: 1-line block ×4, first 2 shown]
	.long	839506039                       ; 0x3209d877
	.long	1315622698                      ; 0x4e6acf2a
	.long	1036957208                      ; 0x3dceb618
	;; [unrolled: 1-line block ×9, first 2 shown]
	.long	997698792                       ; 0x3b77ace8
	.long	1317753106                      ; 0x4e8b5112
	.long	2727078785                      ; 0xa28beb81
	.long	820119215                       ; 0x30e206af
	.long	3586778616                      ; 0xd5c9e5f8
	.long	1993126242                      ; 0x76ccb162
	;; [unrolled: 1-line block ×5, first 2 shown]
	.long	65722921                        ; 0x3eada29
	.long	746724958                       ; 0x2c821e5e
	.long	3999203443                      ; 0xee5f0073
	.long	2335086228                      ; 0x8b2e9694
	;; [unrolled: 1-line block ×4, first 2 shown]
	.long	419349792                       ; 0x18fec520
	.long	1662083910                      ; 0x63116346
	.long	1136716661                      ; 0x43c0eb75
	.long	770031171                       ; 0x2de5be43
	.long	2062767935                      ; 0x7af3573f
	.long	3373230309                      ; 0xc90f68e5
	;; [unrolled: 1-line block ×9, first 2 shown]
	.long	352450195                       ; 0x1501f693
	.long	1002557127                      ; 0x3bc1cec7
	.long	2813224858                      ; 0xa7ae679a
	;; [unrolled: 1-line block ×9, first 2 shown]
	.long	655242013                       ; 0x270e331d
	.long	1152156402                      ; 0x44ac82f2
	.long	3658526705                      ; 0xda10aff1
	.long	548941006                       ; 0x20b82cce
	.long	3280658482                      ; 0xc38ae032
	.long	2120064836                      ; 0x7e5d9f44
	;; [unrolled: 1-line block ×3, first 2 shown]
	.long	97387177                        ; 0x5ce02a9
	.long	4112878213                      ; 0xf5258a85
	.long	584864345                       ; 0x22dc5259
	.long	3874404446                      ; 0xe6eeb85e
	.long	440995849                       ; 0x1a491009
	;; [unrolled: 2-line block ×3, first 2 shown]
	.long	823950215                       ; 0x311c7b87
	.long	3559119399                      ; 0xd423da27
	.long	3855477390                      ; 0xe5cdea8e
	;; [unrolled: 1-line block ×3, first 2 shown]
	.long	610498128                       ; 0x24637650
	.long	2297040376                      ; 0x88ea0df8
	.long	2054191666                      ; 0x7a707a32
	;; [unrolled: 1-line block ×4, first 2 shown]
	.long	518192832                       ; 0x1ee2fec0
	.long	573807317                       ; 0x22339ad5
	.long	1018128176                      ; 0x3caf6730
	.long	2841084399                      ; 0xa95781ef
	;; [unrolled: 1-line block ×8, first 2 shown]
	.long	386661563                       ; 0x170bfcbb
	.long	1715139924                      ; 0x663af554
	.long	2712119598                      ; 0xa1a7a92e
	;; [unrolled: 1-line block ×7, first 2 shown]
	.long	740953233                       ; 0x2c2a0c91
	.long	3351500634                      ; 0xc7c3d75a
	.long	1296305541                      ; 0x4d440d85
	;; [unrolled: 1-line block ×3, first 2 shown]
	.long	610062694                       ; 0x245cd166
	.long	3089981426                      ; 0xb82d5ff2
	.long	3469441840                      ; 0xcecb7b30
	.long	148510865                       ; 0x8da1891
	.long	1010959310                      ; 0x3c4203ce
	.long	2593994385                      ; 0x9a9d3691
	.long	548784340                       ; 0x20b5c8d4
	.long	549871569                       ; 0x20c65fd1
	;; [unrolled: 1-line block ×3, first 2 shown]
	.long	1825306744                      ; 0x6ccbf878
	.long	645229999                       ; 0x26756daf
	.long	1412095765                      ; 0x542adf15
	.long	2814231763                      ; 0xa7bdc4d3
	;; [unrolled: 1-line block ×8, first 2 shown]
	.long	268197516                       ; 0xffc5e8c
	.long	4144513299                      ; 0xf7084113
	.long	3231318896                      ; 0xc09a0370
	;; [unrolled: 1-line block ×6, first 2 shown]
	.long	680649431                       ; 0x2891e2d7
	.long	3290999942                      ; 0xc428ac86
	.long	4065303704                      ; 0xf24f9c98
	;; [unrolled: 1-line block ×7, first 2 shown]
	.long	525501162                       ; 0x1f5282ea
	.long	2149374605                      ; 0x801cda8d
	.long	3736514467                      ; 0xdeb6afa3
	;; [unrolled: 1-line block ×10, first 2 shown]
	.long	56752862                        ; 0x361fade
	.long	864909862                       ; 0x338d7a26
	.long	625377571                       ; 0x25468123
	.long	2308006661                      ; 0x89916305
	.long	2258093843                      ; 0x8697c713
	.long	925722519                       ; 0x372d6797
	.long	1008109592                      ; 0x3c168818
	.long	2819528345                      ; 0xa80e9699
	;; [unrolled: 1-line block ×6, first 2 shown]
	.long	827428943                       ; 0x3151904f
	.long	1583633720                      ; 0x5e645538
	.long	992128922                       ; 0x3b22af9a
	.long	2186287936                      ; 0x82501b40
	.long	2299756421                      ; 0x89137f85
	.long	776912458                       ; 0x2e4ebe4a
	.long	298217241                       ; 0x11c66f19
	.long	2108721702                      ; 0x7db08a26
	.long	1271286102                      ; 0x4bc64956
	;; [unrolled: 1-line block ×17, first 2 shown]
	.long	820119215                       ; 0x30e206af
	.long	3586778616                      ; 0xd5c9e5f8
	.long	206996196                       ; 0xc5682e4
	.long	2295599934                      ; 0x88d4133e
	.long	1171102868                      ; 0x45cd9c94
	;; [unrolled: 1-line block ×3, first 2 shown]
	.long	65722921                        ; 0x3eada29
	.long	3271158508                      ; 0xc2f9eaec
	.long	3999203443                      ; 0xee5f0073
	.long	2335086228                      ; 0x8b2e9694
	.long	1564918930                      ; 0x5d46c492
	.long	3710935369                      ; 0xdd306149
	.long	3305544914                      ; 0xc5069cd2
	.long	1662083910                      ; 0x63116346
	.long	1136716661                      ; 0x43c0eb75
	.long	770031171                       ; 0x2de5be43
	.long	2062767935                      ; 0x7af3573f
	.long	4244195826                      ; 0xfcf949f2
	.long	3271761171                      ; 0xc3031d13
	.long	4100328450                      ; 0xf4660c02
	.long	3352859025                      ; 0xc7d89191
	.long	1262632952                      ; 0x4b423ff8
	.long	3581040310                      ; 0xd57256b6
	.long	3981040854                      ; 0xed49dcd6
	.long	2579000299                      ; 0x99b86beb
	.long	352450195                       ; 0x1501f693
	.long	1002557127                      ; 0x3bc1cec7
	;; [unrolled: 10-line block ×3, first 2 shown]
	.long	3732146227                      ; 0xde740833
	.long	548941006                       ; 0x20b82cce
	.long	3280658482                      ; 0xc38ae032
	.long	2120064836                      ; 0x7e5d9f44
	;; [unrolled: 1-line block ×5, first 2 shown]
	.long	584864345                       ; 0x22dc5259
	.long	3874404446                      ; 0xe6eeb85e
	.long	440995849                       ; 0x1a491009
	.long	3541162446                      ; 0xd311d9ce
	.long	227230803                       ; 0xd8b4453
	.long	823950215                       ; 0x311c7b87
	.long	3559119399                      ; 0xd423da27
	.long	3855477390                      ; 0xe5cdea8e
	.long	560704260                       ; 0x216bab04
	.long	610498128                       ; 0x24637650
	.long	2297040376                      ; 0x88ea0df8
	.long	2054191666                      ; 0x7a707a32
	;; [unrolled: 1-line block ×4, first 2 shown]
	.long	518192832                       ; 0x1ee2fec0
	.long	573807317                       ; 0x22339ad5
	.long	1018128176                      ; 0x3caf6730
	.long	2841084399                      ; 0xa95781ef
	.long	927011949                       ; 0x3741146d
	.long	2512871059                      ; 0x95c75e93
	.long	2747338726                      ; 0xa3c10fe6
	;; [unrolled: 1-line block ×4, first 2 shown]
	.long	566198434                       ; 0x21bf80a2
	.long	386661563                       ; 0x170bfcbb
	.long	1715139924                      ; 0x663af554
	.long	2712119598                      ; 0xa1a7a92e
	.long	3296319359                      ; 0xc479d77f
	.long	520529825                       ; 0x1f06a7a1
	.long	2508754324                      ; 0x95888d94
	.long	3361368810                      ; 0xc85a6aea
	.long	2284913307                      ; 0x8831029b
	;; [unrolled: 4-line block ×3, first 2 shown]
	.long	610062694                       ; 0x245cd166
	.long	3089981426                      ; 0xb82d5ff2
	.long	120496553                       ; 0x72ea1a9
	.long	148510865                       ; 0x8da1891
	.long	1010959310                      ; 0x3c4203ce
	.long	2593994385                      ; 0x9a9d3691
	.long	548784340                       ; 0x20b5c8d4
	.long	3206664898                      ; 0xbf21d2c2
	.long	124676809                       ; 0x76e6ac9
	;; [unrolled: 2-line block ×4, first 2 shown]
	.long	2540745278                      ; 0x9770b23e
	.long	3792219969                      ; 0xe208af41
	;; [unrolled: 1-line block ×6, first 2 shown]
	.long	268197516                       ; 0xffc5e8c
	.long	4144513299                      ; 0xf7084113
	.long	3231318896                      ; 0xc09a0370
	;; [unrolled: 1-line block ×6, first 2 shown]
	.long	680649431                       ; 0x2891e2d7
	.long	3331403374                      ; 0xc6912e6e
	.long	4065303704                      ; 0xf24f9c98
	;; [unrolled: 1-line block ×7, first 2 shown]
	.long	525501162                       ; 0x1f5282ea
	.long	2149374605                      ; 0x801cda8d
	.long	3736514467                      ; 0xdeb6afa3
	;; [unrolled: 1-line block ×10, first 2 shown]
	.long	56752862                        ; 0x361fade
	.long	864909862                       ; 0x338d7a26
	.long	1009125580                      ; 0x3c2608cc
	.long	2308006661                      ; 0x89916305
	;; [unrolled: 1-line block ×3, first 2 shown]
	.long	925722519                       ; 0x372d6797
	.long	1008109592                      ; 0x3c168818
	.long	4166824654                      ; 0xf85cb2ce
	;; [unrolled: 1-line block ×4, first 2 shown]
	.long	841675162                       ; 0x322af19a
	.long	2388734555                      ; 0x8e61325b
	.long	3373081217                      ; 0xc90d2281
	;; [unrolled: 1-line block ×8, first 2 shown]
	.long	806066092                       ; 0x300b97ac
	.long	2168342987                      ; 0x813e49cb
	.long	3778265278                      ; 0xe133c0be
	.long	943582962                       ; 0x383deef2
	.long	3895768303                      ; 0xe834b4ef
	.long	337928214                       ; 0x14246016
	.long	3677576461                      ; 0xdb335d0d
	.long	1884088203                      ; 0x704ce78b
	;; [unrolled: 1-line block ×8, first 2 shown]
	.long	794977307                       ; 0x2f62641b
	.long	2675637463                      ; 0x9f7afcd7
	.long	2655426076                      ; 0x9e46961c
	;; [unrolled: 1-line block ×11, first 2 shown]
	.long	833108024                       ; 0x31a83838
	.long	3562046155                      ; 0xd45082cb
	.long	1113632369                      ; 0x4260ae71
	;; [unrolled: 1-line block ×13, first 2 shown]
	.long	848785806                       ; 0x3297718e
	.long	1834095770                      ; 0x6d52149a
	.long	4017238                         ; 0x3d4c56
	.long	2661097500                      ; 0x9e9d201c
	.long	2935787683                      ; 0xaefc90a3
	;; [unrolled: 1-line block ×8, first 2 shown]
	.long	695479209                       ; 0x29742ba9
	.long	2634119800                      ; 0x9d017a78
	.long	1379839034                      ; 0x523eac3a
	;; [unrolled: 1-line block ×3, first 2 shown]
	.long	921934002                       ; 0x36f398b2
	.long	3586936843                      ; 0xd5cc500b
	.long	3035369677                      ; 0xb4ec10cd
	.long	769283110                       ; 0x2dda5426
	.long	2417935220                      ; 0x901ec374
	.long	3330084607                      ; 0xc67d0eff
	;; [unrolled: 1-line block ×11, first 2 shown]
	.long	157448610                       ; 0x96279a2
	.long	2474336972                      ; 0x937b62cc
	.long	3313035876                      ; 0xc578ea64
	.long	309195150                       ; 0x126df18e
	.long	2288837115                      ; 0x886ce1fb
	.long	548743307                       ; 0x20b5288b
	.long	528342914                       ; 0x1f7ddf82
	.long	1527562212                      ; 0x5b0cbfe4
	.long	554918643                       ; 0x211362f3
	.long	2739291918                      ; 0xa346470e
	.long	2630873849                      ; 0x9ccff2f9
	.long	155419923                       ; 0x9438513
	.long	226845272                       ; 0xd856258
	.long	1343735931                      ; 0x5017c87b
	.long	3106346884                      ; 0xb9271784
	;; [unrolled: 1-line block ×7, first 2 shown]
	.long	317920918                       ; 0x12f31696
	.long	745796250                       ; 0x2c73f29a
	.long	3816657414                      ; 0xe37d9206
	.long	4198378080                      ; 0xfa3e2a60
	;; [unrolled: 1-line block ×3, first 2 shown]
	.long	503016924                       ; 0x1dfb6ddc
	.long	2027816790                      ; 0x78de0756
	.long	579332504                       ; 0x2287e998
	.long	3037999504                      ; 0xb5143190
	.long	2857298788                      ; 0xaa4eeb64
	.long	911046668                       ; 0x364d780c
	.long	1170775701                      ; 0x45c89e95
	.long	2369720                         ; 0x2428b8
	.long	3364839261                      ; 0xc88f5f5d
	.long	1462383461                      ; 0x572a3365
	.long	181600856                       ; 0xad30258
	.long	1315241696                      ; 0x4e64fee0
	.long	2861043792                      ; 0xaa881050
	;; [unrolled: 1-line block ×12, first 2 shown]
	.long	410286941                       ; 0x18747b5d
	.long	2497285113                      ; 0x94d98bf9
	.long	1338500439                      ; 0x4fc7e557
	;; [unrolled: 1-line block ×4, first 2 shown]
	.long	545570554                       ; 0x2084befa
	.long	1519868916                      ; 0x5a975bf4
	.long	679216320                       ; 0x287c04c0
	.long	3264840479                      ; 0xc299831f
	.long	4083041163                      ; 0xf35e438b
	.long	261878334                       ; 0xf9bf23e
	.long	2370312122                      ; 0x8d4817ba
	.long	1408058272                      ; 0x53ed43a0
	.long	1287635274                      ; 0x4cbfc14a
	.long	3433241543                      ; 0xcca31bc7
	.long	3923613754                      ; 0xe9dd983a
	.long	2423502603                      ; 0x9073b70b
	.long	3948993135                      ; 0xeb60da6f
	.long	1418484161                      ; 0x548c59c1
	.long	230113502                       ; 0xdb740de
	.long	1766447938                      ; 0x6949db42
	.long	3101286974                      ; 0xb8d9e23e
	.long	917358979                       ; 0x36adc983
	.long	2836128279                      ; 0xa90be217
	.long	2859079881                      ; 0xaa6a18c9
	;; [unrolled: 1-line block ×4, first 2 shown]
	.long	154509481                       ; 0x935a0a9
	.long	2409785274                      ; 0x8fa267ba
	.long	3096379437                      ; 0xb88f002d
	;; [unrolled: 1-line block ×5, first 2 shown]
	.long	230462381                       ; 0xdbc93ad
	.long	4046364119                      ; 0xf12e9dd7
	.long	716597790                       ; 0x2ab66a1e
	.long	2031510641                      ; 0x79166471
	.long	2208319977                      ; 0x83a049e9
	;; [unrolled: 1-line block ×7, first 2 shown]
	.long	768116962                       ; 0x2dc888e2
	.long	1782906996                      ; 0x6a450074
	.long	3022943801                      ; 0xb42e7639
	.long	510040722                       ; 0x1e669a92
	.long	2180373447                      ; 0x81f5dbc7
	.long	1294989632                      ; 0x4d2ff940
	;; [unrolled: 1-line block ×3, first 2 shown]
	.long	953774117                       ; 0x38d97025
	.long	500296619                       ; 0x1dd1ebab
	.long	2269873184                      ; 0x874b8420
	.long	3215368465                      ; 0xbfa6a111
	;; [unrolled: 1-line block ×5, first 2 shown]
	.long	617528376                       ; 0x24cebc38
	.long	2437412983                      ; 0x9147f877
	.long	2921242388                      ; 0xae1e9f14
	;; [unrolled: 1-line block ×7, first 2 shown]
	.long	397599239                       ; 0x17b2e207
	.long	3344183623                      ; 0xc7543147
	.long	1159383441                      ; 0x451ac991
	.long	81554651                        ; 0x4dc6cdb
	.long	4223302962                      ; 0xfbba7d32
	.long	2812031899                      ; 0xa79c339b
	;; [unrolled: 1-line block ×5, first 2 shown]
	.long	670173062                       ; 0x27f20786
	.long	2361031672                      ; 0x8cba7bf8
	.long	1745444335                      ; 0x68095def
	;; [unrolled: 1-line block ×7, first 2 shown]
	.long	92212044                        ; 0x57f0b4c
	.long	1041941495                      ; 0x3e1ac3f7
	.long	4116546365                      ; 0xf55d833d
	;; [unrolled: 1-line block ×4, first 2 shown]
	.long	216246182                       ; 0xce3a7a6
	.long	2271736480                      ; 0x8767f2a0
	.long	1006434362                      ; 0x3bfcf83a
	;; [unrolled: 1-line block ×8, first 2 shown]
	.long	448786402                       ; 0x1abfefe2
	.long	749040342                       ; 0x2ca572d6
	;; [unrolled: 1-line block ×3, first 2 shown]
	.long	2522826782                      ; 0x965f481e
	.long	3681979470                      ; 0xdb768c4e
	.long	3941253886                      ; 0xeaeac2fe
	.long	672615054                       ; 0x28174a8e
	.long	3655479714                      ; 0xd9e231a2
	.long	392178376                       ; 0x17602ac8
	.long	1619518340                      ; 0x6087e384
	.long	1639889010                      ; 0x61beb872
	.long	666186812                       ; 0x27b5343c
	.long	4094569743                      ; 0xf40e2d0f
	.long	2947917117                      ; 0xafb5a53d
	;; [unrolled: 1-line block ×10, first 2 shown]
	.long	58659757                        ; 0x37f13ad
	.long	691952777                       ; 0x293e5c89
	.long	3394715763                      ; 0xca574073
	.long	3333944006                      ; 0xc6b7f2c6
	;; [unrolled: 1-line block ×17, first 2 shown]
	.long	535767974                       ; 0x1fef2ba6
	.long	3105256806                      ; 0xb9167566
	.long	15427398                        ; 0xeb6746
	.long	2472341690                      ; 0x935cf0ba
	.long	685997424                       ; 0x28e37d70
	.long	1374644561                      ; 0x51ef6951
	.long	2446214061                      ; 0x91ce43ad
	.long	2844847931                      ; 0xa990ef3b
	.long	1058649390                      ; 0x3f19b52e
	.long	1581230869                      ; 0x5e3fab15
	.long	1725846082                      ; 0x66de5242
	.long	3062699842                      ; 0xb68d1742
	.long	1116400547                      ; 0x428aeba3
	.long	1095426642                      ; 0x414ae252
	.long	2940190462                      ; 0xaf3fbefe
	.long	4276038488                      ; 0xfedf2b58
	.long	2091764667                      ; 0x7cadcbbb
	.long	4074059985                      ; 0xf2d538d1
	.long	98163536                        ; 0x5d9db50
	.long	4157153745                      ; 0xf7c921d1
	.long	32476821                        ; 0x1ef8e95
	.long	2354284775                      ; 0x8c5388e7
	.long	752663757                       ; 0x2cdcbccd
	.long	2987293678                      ; 0xb20e7bee
	.long	1119786914                      ; 0x42be97a2
	;; [unrolled: 1-line block ×3, first 2 shown]
	.long	111185876                       ; 0x6a08fd4
	.long	3569592548                      ; 0xd4c3a8e4
	.long	3991775183                      ; 0xededa7cf
	;; [unrolled: 1-line block ×5, first 2 shown]
	.long	426129509                       ; 0x19663865
	.long	3659038742                      ; 0xda188016
	.long	1387393667                      ; 0x52b1f283
	.long	543731583                       ; 0x2068af7f
	.long	781586523                       ; 0x2e96105b
	;; [unrolled: 1-line block ×4, first 2 shown]
	.long	3911092159                      ; 0xe91e87bf
	.long	325250500                       ; 0x1362edc4
	.long	2735441676                      ; 0xa30b870c
	.long	163564958                       ; 0x9bfcd9e
	;; [unrolled: 2-line block ×3, first 2 shown]
	.long	1869530240                      ; 0x6f6ec480
	.long	2233969733                      ; 0x8527ac45
	;; [unrolled: 1-line block ×8, first 2 shown]
	.long	466036013                       ; 0x1bc7252d
	.long	2456954827                      ; 0x927227cb
	.long	2895978734                      ; 0xac9d20ee
	.long	1621803157                      ; 0x60aac095
	.long	230462381                       ; 0xdbc93ad
	.long	2022150409                      ; 0x78879109
	.long	716597790                       ; 0x2ab66a1e
	.long	2031510641                      ; 0x79166471
	.long	2208319977                      ; 0x83a049e9
	;; [unrolled: 1-line block ×7, first 2 shown]
	.long	768116962                       ; 0x2dc888e2
	.long	2303040715                      ; 0x89459ccb
	.long	3022943801                      ; 0xb42e7639
	.long	510040722                       ; 0x1e669a92
	.long	2180373447                      ; 0x81f5dbc7
	.long	1294989632                      ; 0x4d2ff940
	;; [unrolled: 1-line block ×3, first 2 shown]
	.long	953774117                       ; 0x38d97025
	.long	500296619                       ; 0x1dd1ebab
	.long	2269873184                      ; 0x874b8420
	.long	3215368465                      ; 0xbfa6a111
	;; [unrolled: 1-line block ×5, first 2 shown]
	.long	617528376                       ; 0x24cebc38
	.long	2437412983                      ; 0x9147f877
	.long	1730632320                      ; 0x67275a80
	;; [unrolled: 1-line block ×7, first 2 shown]
	.long	397599239                       ; 0x17b2e207
	.long	3344183623                      ; 0xc7543147
	.long	1159383441                      ; 0x451ac991
	.long	81554651                        ; 0x4dc6cdb
	.long	1933731121                      ; 0x73426531
	.long	2812031899                      ; 0xa79c339b
	;; [unrolled: 1-line block ×5, first 2 shown]
	.long	758113139                       ; 0x2d2fe373
	.long	2361031672                      ; 0x8cba7bf8
	.long	1745444335                      ; 0x68095def
	;; [unrolled: 1-line block ×7, first 2 shown]
	.long	92212044                        ; 0x57f0b4c
	.long	1041941495                      ; 0x3e1ac3f7
	.long	2653519981                      ; 0x9e29806d
	;; [unrolled: 1-line block ×4, first 2 shown]
	.long	216246182                       ; 0xce3a7a6
	.long	2271736480                      ; 0x8767f2a0
	.long	695350220                       ; 0x297233cc
	.long	4104644208                      ; 0xf4a7e670
	.long	2543874803                      ; 0x97a072f3
	;; [unrolled: 1-line block ×6, first 2 shown]
	.long	448786402                       ; 0x1abfefe2
	.long	749040342                       ; 0x2ca572d6
	;; [unrolled: 1-line block ×3, first 2 shown]
	.long	4081844472                      ; 0xf34c00f8
	.long	3681979470                      ; 0xdb768c4e
	;; [unrolled: 1-line block ×3, first 2 shown]
	.long	672615054                       ; 0x28174a8e
	.long	3655479714                      ; 0xd9e231a2
	.long	197563239                       ; 0xbc69367
	.long	1619518340                      ; 0x6087e384
	.long	1639889010                      ; 0x61beb872
	.long	666186812                       ; 0x27b5343c
	.long	4094569743                      ; 0xf40e2d0f
	.long	2518320719                      ; 0x961a864f
	;; [unrolled: 1-line block ×10, first 2 shown]
	.long	58659757                        ; 0x37f13ad
	.long	3412172826                      ; 0xcb61a01a
	.long	3394715763                      ; 0xca574073
	;; [unrolled: 1-line block ×18, first 2 shown]
	.long	535767974                       ; 0x1fef2ba6
	.long	3105256806                      ; 0xb9167566
	.long	450760279                       ; 0x1ade0e57
	.long	2472341690                      ; 0x935cf0ba
	;; [unrolled: 2-line block ×3, first 2 shown]
	.long	2446214061                      ; 0x91ce43ad
	.long	1873063065                      ; 0x6fa4ac99
	;; [unrolled: 1-line block ×6, first 2 shown]
	.long	813496775                       ; 0x307cf9c7
	.long	1095426642                      ; 0x414ae252
	.long	2940190462                      ; 0xaf3fbefe
	;; [unrolled: 1-line block ×5, first 2 shown]
	.long	98163536                        ; 0x5d9db50
	.long	4157153745                      ; 0xf7c921d1
	.long	32476821                        ; 0x1ef8e95
	.long	2354284775                      ; 0x8c5388e7
	.long	3115605568                      ; 0xb9b45e40
	;; [unrolled: 1-line block ×5, first 2 shown]
	.long	111185876                       ; 0x6a08fd4
	.long	996447434                       ; 0x3b6494ca
	.long	3991775183                      ; 0xededa7cf
	.long	3161418733                      ; 0xbc6f6bed
	;; [unrolled: 1-line block ×7, first 2 shown]
	.long	543731583                       ; 0x2068af7f
	.long	781586523                       ; 0x2e96105b
	.long	2711412312                      ; 0xa19cde58
	.long	832142534                       ; 0x31997cc6
	.long	3911092159                      ; 0xe91e87bf
	;; [unrolled: 2-line block ×3, first 2 shown]
	.long	3563501139                      ; 0xd466b653
	.long	1002098855                      ; 0x3bbad0a7
	.long	337936437                       ; 0x14248035
	.long	1869530240                      ; 0x6f6ec480
	.long	2233969733                      ; 0x8527ac45
	;; [unrolled: 1-line block ×8, first 2 shown]
	.long	466036013                       ; 0x1bc7252d
	.long	2456954827                      ; 0x927227cb
	.long	2895978734                      ; 0xac9d20ee
	;; [unrolled: 1-line block ×5, first 2 shown]
	.long	716597790                       ; 0x2ab66a1e
	.long	2031510641                      ; 0x79166471
	.long	2208319977                      ; 0x83a049e9
	.long	1823993818                      ; 0x6cb7efda
	.long	1838834877                      ; 0x6d9a64bd
	.long	3628284249                      ; 0xd8433959
	.long	1393263274                      ; 0x530b82aa
	.long	3842378742                      ; 0xe5060bf6
	.long	2489609764                      ; 0x94646e24
	.long	2303040715                      ; 0x89459ccb
	.long	3022943801                      ; 0xb42e7639
	.long	510040722                       ; 0x1e669a92
	.long	2180373447                      ; 0x81f5dbc7
	.long	4204167795                      ; 0xfa968273
	;; [unrolled: 1-line block ×3, first 2 shown]
	.long	953774117                       ; 0x38d97025
	.long	500296619                       ; 0x1dd1ebab
	.long	2269873184                      ; 0x874b8420
	.long	2320314628                      ; 0x8a4d3104
	;; [unrolled: 1-line block ×5, first 2 shown]
	.long	617528376                       ; 0x24cebc38
	.long	712451843                       ; 0x2a772703
	.long	1730632320                      ; 0x67275a80
	.long	2311040363                      ; 0x89bfad6b
	;; [unrolled: 1-line block ×6, first 2 shown]
	.long	397599239                       ; 0x17b2e207
	.long	3344183623                      ; 0xc7543147
	.long	1159383441                      ; 0x451ac991
	.long	758272390                       ; 0x2d325186
	.long	1933731121                      ; 0x73426531
	.long	2812031899                      ; 0xa79c339b
	;; [unrolled: 1-line block ×5, first 2 shown]
	.long	758113139                       ; 0x2d2fe373
	.long	2361031672                      ; 0x8cba7bf8
	.long	1745444335                      ; 0x68095def
	;; [unrolled: 1-line block ×7, first 2 shown]
	.long	92212044                        ; 0x57f0b4c
	.long	817573506                       ; 0x30bb2e82
	.long	2653519981                      ; 0x9e29806d
	.long	2094375399                      ; 0x7cd5a1e7
	.long	3992554702                      ; 0xedf98cce
	.long	216246182                       ; 0xce3a7a6
	.long	2456924809                      ; 0x9271b289
	.long	695350220                       ; 0x297233cc
	.long	4104644208                      ; 0xf4a7e670
	.long	2543874803                      ; 0x97a072f3
	;; [unrolled: 1-line block ×6, first 2 shown]
	.long	448786402                       ; 0x1abfefe2
	.long	749040342                       ; 0x2ca572d6
	;; [unrolled: 1-line block ×3, first 2 shown]
	.long	4081844472                      ; 0xf34c00f8
	.long	3681979470                      ; 0xdb768c4e
	;; [unrolled: 1-line block ×3, first 2 shown]
	.long	672615054                       ; 0x28174a8e
	.long	3038758846                      ; 0xb51fc7be
	.long	197563239                       ; 0xbc69367
	.long	1619518340                      ; 0x6087e384
	.long	1639889010                      ; 0x61beb872
	.long	666186812                       ; 0x27b5343c
	.long	4254608071                      ; 0xfd982ac7
	.long	2518320719                      ; 0x961a864f
	;; [unrolled: 1-line block ×10, first 2 shown]
	.long	403923766                       ; 0x18136336
	.long	3412172826                      ; 0xcb61a01a
	.long	3394715763                      ; 0xca574073
	;; [unrolled: 1-line block ×14, first 2 shown]
	.long	966714666                       ; 0x399ee52a
	.long	3546175061                      ; 0xd35e5655
	.long	2376551740                      ; 0x8da74d3c
	;; [unrolled: 1-line block ×3, first 2 shown]
	.long	535767974                       ; 0x1fef2ba6
	.long	1561255376                      ; 0x5d0eddd0
	.long	450760279                       ; 0x1ade0e57
	.long	2472341690                      ; 0x935cf0ba
	.long	685997424                       ; 0x28e37d70
	.long	1374644561                      ; 0x51ef6951
	.long	3122124160                      ; 0xba17d580
	.long	1873063065                      ; 0x6fa4ac99
	;; [unrolled: 1-line block ×6, first 2 shown]
	.long	813496775                       ; 0x307cf9c7
	.long	1095426642                      ; 0x414ae252
	.long	2940190462                      ; 0xaf3fbefe
	;; [unrolled: 1-line block ×5, first 2 shown]
	.long	98163536                        ; 0x5d9db50
	.long	4157153745                      ; 0xf7c921d1
	.long	32476821                        ; 0x1ef8e95
	.long	1640659450                      ; 0x61ca79fa
	.long	3115605568                      ; 0xb9b45e40
	;; [unrolled: 1-line block ×6, first 2 shown]
	.long	996447434                       ; 0x3b6494ca
	.long	3991775183                      ; 0xededa7cf
	.long	3161418733                      ; 0xbc6f6bed
	;; [unrolled: 1-line block ×7, first 2 shown]
	.long	543731583                       ; 0x2068af7f
	.long	1694361696                      ; 0x64fde860
	.long	2711412312                      ; 0xa19cde58
	.long	832142534                       ; 0x31997cc6
	.long	3911092159                      ; 0xe91e87bf
	.long	325250500                       ; 0x1362edc4
	.long	166035542                       ; 0x9e58056
	.long	3563501139                      ; 0xd466b653
	.long	1002098855                      ; 0x3bbad0a7
	.long	337936437                       ; 0x14248035
	.long	1869530240                      ; 0x6f6ec480
	.long	1306446339                      ; 0x4ddeca03
	;; [unrolled: 1-line block ×6, first 2 shown]
	.long	61899937                        ; 0x3b084a1
	.long	3832870112                      ; 0xe474f4e0
	.long	466036013                       ; 0x1bc7252d
	.long	2456954827                      ; 0x927227cb
	.long	2895978734                      ; 0xac9d20ee
	.long	767569205                       ; 0x2dc02d35
	.long	2340808859                      ; 0x8b85e89b
	;; [unrolled: 3-line block ×3, first 2 shown]
	.long	1690074863                      ; 0x64bc7eef
	.long	1823993818                      ; 0x6cb7efda
	;; [unrolled: 1-line block ×5, first 2 shown]
	.long	546011580                       ; 0x208b79bc
	.long	2489609764                      ; 0x94646e24
	.long	2303040715                      ; 0x89459ccb
	;; [unrolled: 1-line block ×3, first 2 shown]
	.long	510040722                       ; 0x1e669a92
	.long	825252468                       ; 0x31305a74
	.long	4204167795                      ; 0xfa968273
	.long	3074858415                      ; 0xb7469daf
	.long	953774117                       ; 0x38d97025
	.long	500296619                       ; 0x1dd1ebab
	.long	1952242515                      ; 0x745cdb53
	.long	2320314628                      ; 0x8a4d3104
	.long	3531413908                      ; 0xd27d1994
	.long	2401810535                      ; 0x8f28b867
	.long	3568992417                      ; 0xd4ba80a1
	.long	4254767597                      ; 0xfd9a99ed
	.long	712451843                       ; 0x2a772703
	.long	1730632320                      ; 0x67275a80
	.long	2311040363                      ; 0x89bfad6b
	;; [unrolled: 1-line block ×6, first 2 shown]
	.long	397599239                       ; 0x17b2e207
	.long	3344183623                      ; 0xc7543147
	.long	1759399025                      ; 0x68de4c71
	.long	758272390                       ; 0x2d325186
	.long	1933731121                      ; 0x73426531
	.long	2812031899                      ; 0xa79c339b
	;; [unrolled: 1-line block ×5, first 2 shown]
	.long	758113139                       ; 0x2d2fe373
	.long	2361031672                      ; 0x8cba7bf8
	.long	1745444335                      ; 0x68095def
	;; [unrolled: 1-line block ×8, first 2 shown]
	.long	817573506                       ; 0x30bb2e82
	.long	2653519981                      ; 0x9e29806d
	.long	2094375399                      ; 0x7cd5a1e7
	;; [unrolled: 1-line block ×5, first 2 shown]
	.long	695350220                       ; 0x297233cc
	.long	4104644208                      ; 0xf4a7e670
	.long	2543874803                      ; 0x97a072f3
	;; [unrolled: 1-line block ×6, first 2 shown]
	.long	448786402                       ; 0x1abfefe2
	.long	801157439                       ; 0x2fc0b13f
	;; [unrolled: 1-line block ×3, first 2 shown]
	.long	4081844472                      ; 0xf34c00f8
	.long	3681979470                      ; 0xdb768c4e
	;; [unrolled: 1-line block ×3, first 2 shown]
	.long	975875511                       ; 0x3a2aadb7
	.long	3038758846                      ; 0xb51fc7be
	.long	197563239                       ; 0xbc69367
	.long	1619518340                      ; 0x6087e384
	.long	1639889010                      ; 0x61beb872
	;; [unrolled: 1-line block ×7, first 2 shown]
	.long	631178204                       ; 0x259f03dc
	.long	3100620860                      ; 0xb8cfb83c
	.long	3320483696                      ; 0xc5ea8f70
	;; [unrolled: 1-line block ×5, first 2 shown]
	.long	403923766                       ; 0x18136336
	.long	3412172826                      ; 0xcb61a01a
	.long	3394715763                      ; 0xca574073
	;; [unrolled: 1-line block ×3, first 2 shown]
	.long	37220448                        ; 0x237f060
	.long	1859724785                      ; 0x6ed925f1
	.long	1693717788                      ; 0x64f4151c
	.long	2071056894                      ; 0x7b71d1fe
	.long	1263790655                      ; 0x4b53ea3f
	.long	228419012                       ; 0xd9d65c4
	.long	2908736862                      ; 0xad5fcd5e
	.long	2564478937                      ; 0x98dad7d9
	.long	3031631424                      ; 0xb4b30640
	.long	3912597408                      ; 0xe9357fa0
	.long	3862306448                      ; 0xe6361e90
	.long	966714666                       ; 0x399ee52a
	.long	3546175061                      ; 0xd35e5655
	;; [unrolled: 6-line block ×3, first 2 shown]
	.long	685997424                       ; 0x28e37d70
	.long	2456661198                      ; 0x926dacce
	.long	3122124160                      ; 0xba17d580
	;; [unrolled: 1-line block ×7, first 2 shown]
	.long	813496775                       ; 0x307cf9c7
	.long	1095426642                      ; 0x414ae252
	.long	2940190462                      ; 0xaf3fbefe
	;; [unrolled: 1-line block ×5, first 2 shown]
	.long	98163536                        ; 0x5d9db50
	.long	4157153745                      ; 0xf7c921d1
	.long	1578965959                      ; 0x5e1d1bc7
	.long	1640659450                      ; 0x61ca79fa
	.long	3115605568                      ; 0xb9b45e40
	.long	2987293678                      ; 0xb20e7bee
	.long	1119786914                      ; 0x42be97a2
	.long	1748408698                      ; 0x6836997a
	.long	4278091706                      ; 0xfefe7fba
	.long	996447434                       ; 0x3b6494ca
	.long	3991775183                      ; 0xededa7cf
	.long	3161418733                      ; 0xbc6f6bed
	.long	4123935663                      ; 0xf5ce43af
	.long	3398421232                      ; 0xca8fcaf0
	.long	1089784804                      ; 0x40f4cbe4
	.long	3659038742                      ; 0xda188016
	.long	1387393667                      ; 0x52b1f283
	.long	770706529                       ; 0x2df00c61
	.long	1694361696                      ; 0x64fde860
	.long	2711412312                      ; 0xa19cde58
	.long	832142534                       ; 0x31997cc6
	.long	3911092159                      ; 0xe91e87bf
	.long	335435644                       ; 0x13fe577c
	.long	166035542                       ; 0x9e58056
	.long	3563501139                      ; 0xd466b653
	.long	1002098855                      ; 0x3bbad0a7
	.long	337936437                       ; 0x14248035
	.long	2961857543                      ; 0xb08a5c07
	.long	1306446339                      ; 0x4ddeca03
	;; [unrolled: 1-line block ×11, first 2 shown]
	.long	779574284                       ; 0x2e775c0c
	.long	2369501052                      ; 0x8d3bb77c
	.long	2316224856                      ; 0x8a0ec958
	;; [unrolled: 1-line block ×9, first 2 shown]
	.long	679206534                       ; 0x287bde86
	.long	4014394509                      ; 0xef46cc8d
	.long	3624968312                      ; 0xd810a078
	;; [unrolled: 1-line block ×3, first 2 shown]
	.long	725015758                       ; 0x2b36dcce
	.long	707677352                       ; 0x2a2e4ca8
	.long	3764409715                      ; 0xe0605573
	.long	1938306480                      ; 0x738835b0
	;; [unrolled: 1-line block ×4, first 2 shown]
	.long	684262379                       ; 0x28c903eb
	.long	2142433069                      ; 0x7fb2ef2d
	.long	43407198                        ; 0x296575e
	.long	1398850259                      ; 0x5360c2d3
	.long	2059135843                      ; 0x7abbeb63
	.long	240266749                       ; 0xe522dfd
	.long	3788738212                      ; 0xe1d38ea4
	.long	118513026                       ; 0x7105d82
	.long	820245055                       ; 0x30e3f23f
	.long	1152812311                      ; 0x44b68517
	.long	1398373423                      ; 0x53597c2f
	;; [unrolled: 1-line block ×3, first 2 shown]
	.long	872620936                       ; 0x34032388
	.long	2084649448                      ; 0x7c4139e8
	.long	807979538                       ; 0x3028ca12
	.long	819501992                       ; 0x30d89ba8
	;; [unrolled: 1-line block ×3, first 2 shown]
	.long	3393148006                      ; 0xca3f5466
	.long	1765623964                      ; 0x693d489c
	.long	2514767257                      ; 0x95e44d99
	.long	3711360450                      ; 0xdd36ddc2
	.long	2941886951                      ; 0xaf59a1e7
	.long	3739102698                      ; 0xdede2dea
	.long	4022385962                      ; 0xefc0bd2a
	.long	2306039667                      ; 0x89735f73
	.long	3321267290                      ; 0xc5f6845a
	.long	2179238310                      ; 0x81e489a6
	.long	3192652502                      ; 0xbe4c02d6
	.long	2118792870                      ; 0x7e4a36a6
	.long	2571142127                      ; 0x994083ef
	.long	761776508                       ; 0x2d67c97c
	.long	873010906                       ; 0x340916da
	.long	1609627751                      ; 0x5ff0f867
	.long	4260021041                      ; 0xfdeac331
	;; [unrolled: 1-line block ×3, first 2 shown]
	.long	960771906                       ; 0x39443742
	.long	2647903291                      ; 0x9dd3cc3b
	.long	77475681                        ; 0x49e2f61
	.long	1282566533                      ; 0x4c726985
	.long	4022186916                      ; 0xefbdb3a4
	;; [unrolled: 1-line block ×6, first 2 shown]
	.long	74236514                        ; 0x46cc262
	.long	2806532232                      ; 0xa7484888
	.long	3981048887                      ; 0xed49fc37
	.long	1888842784                      ; 0x70957420
	.long	2888607878                      ; 0xac2ca886
	.long	1763028723                      ; 0x6915aef3
	.long	701886756                       ; 0x29d5f124
	.long	4124077776                      ; 0xf5d06ed0
	.long	3738147505                      ; 0xdecf9ab1
	;; [unrolled: 1-line block ×4, first 2 shown]
	.long	921061872                       ; 0x36e649f0
	.long	2956972182                      ; 0xb03fd096
	.long	3159072916                      ; 0xbc4ba094
	;; [unrolled: 1-line block ×5, first 2 shown]
	.long	671098116                       ; 0x28002504
	.long	1282750020                      ; 0x4c753644
	.long	1008618197                      ; 0x3c1e4ad5
	;; [unrolled: 1-line block ×5, first 2 shown]
	.long	131027176                       ; 0x7cf50e8
	.long	666394000                       ; 0x27b85d90
	.long	2062217824                      ; 0x7aeaf260
	.long	1763334218                      ; 0x691a584a
	.long	551118598                       ; 0x20d96706
	.long	1277961175                      ; 0x4c2c23d7
	.long	3523893635                      ; 0xd20a5983
	;; [unrolled: 1-line block ×8, first 2 shown]
	.long	389417851                       ; 0x17360b7b
	.long	2711591984                      ; 0xa19f9c30
	.long	427723436                       ; 0x197e8aac
	.long	1039703630                      ; 0x3df89e4e
	.long	639602991                       ; 0x261f912f
	.long	444779318                       ; 0x1a82cb36
	.long	2722002973                      ; 0xa23e781d
	.long	3927985419                      ; 0xea204d0b
	;; [unrolled: 1-line block ×3, first 2 shown]
	.long	298277450                       ; 0x11c75a4a
	.long	656022205                       ; 0x271a1abd
	;; [unrolled: 1-line block ×3, first 2 shown]
	.long	3847728042                      ; 0xe557abaa
	.long	3339100423                      ; 0xc706a107
	.long	407022043                       ; 0x1842a9db
	.long	1282443442                      ; 0x4c7088b2
	.long	3173884578                      ; 0xbd2da2a2
	;; [unrolled: 1-line block ×8, first 2 shown]
	.long	705887737                       ; 0x2a12fdf9
	.long	2129202688                      ; 0x7ee90e00
	.long	3853676283                      ; 0xe5b26efb
	;; [unrolled: 1-line block ×3, first 2 shown]
	.long	875153687                       ; 0x3429c917
	.long	2367465660                      ; 0x8d1ca8bc
	.long	2763058233                      ; 0xa4b0ec39
	;; [unrolled: 1-line block ×4, first 2 shown]
	.long	491306883                       ; 0x1d48bf83
	.long	277753357                       ; 0x108e2e0d
	.long	3868415380                      ; 0xe6935594
	.long	324867643                       ; 0x135d163b
	.long	3654474955                      ; 0xd9d2dccb
	.long	2569410351                      ; 0x9926172f
	;; [unrolled: 1-line block ×5, first 2 shown]
	.long	662085935                       ; 0x2776a12f
	.long	2263514999                      ; 0x86ea7f77
	.long	3077768113                      ; 0xb77303b1
	;; [unrolled: 1-line block ×5, first 2 shown]
	.long	188422725                       ; 0xb3b1a45
	.long	813812450                       ; 0x3081cae2
	.long	1502276531                      ; 0x598aebb3
	.long	3909138356                      ; 0xe900b7b4
	;; [unrolled: 1-line block ×4, first 2 shown]
	.long	573108836                       ; 0x2228f264
	.long	1240264181                      ; 0x49ecedf5
	.long	1624064648                      ; 0x60cd4288
	;; [unrolled: 1-line block ×10, first 2 shown]
	.long	996186898                       ; 0x3b609b12
	.long	3893981177                      ; 0xe8196ff9
	.long	1268272590                      ; 0x4b984dce
	;; [unrolled: 1-line block ×3, first 2 shown]
	.long	153038465                       ; 0x91f2e81
	.long	2184871198                      ; 0x823a7d1e
	.long	3224094011                      ; 0xc02bc53b
	;; [unrolled: 1-line block ×8, first 2 shown]
	.long	367907454                       ; 0x15edd27e
	.long	574009898                       ; 0x2236b22a
	.long	1948901330                      ; 0x7429dfd2
	.long	60430044                        ; 0x39a16dc
	.long	1569835584                      ; 0x5d91ca40
	.long	3160561697                      ; 0xbc625821
	.long	321792583                       ; 0x132e2a47
	.long	3179087993                      ; 0xbd7d0879
	.long	1936928378                      ; 0x73732e7a
	.long	412346905                       ; 0x1893ea19
	.long	4020812489                      ; 0xefa8bac9
	.long	2603392174                      ; 0x9b2c9cae
	;; [unrolled: 1-line block ×12, first 2 shown]
	.long	8035741                         ; 0x7a9d9d
	.long	4038904206                      ; 0xf0bcc98e
	.long	2408545792                      ; 0x8f8f7e00
	.long	969543501                       ; 0x39ca0f4d
	.long	954847087                       ; 0x38e9cf6f
	;; [unrolled: 1-line block ×3, first 2 shown]
	.long	3096241999                      ; 0xb88ce74f
	.long	2566194741                      ; 0x98f50635
	.long	84678421                        ; 0x50c1715
	.long	3882676079                      ; 0xe76cef6f
	.long	2483934330                      ; 0x940dd47a
	;; [unrolled: 1-line block ×4, first 2 shown]
	.long	620385599                       ; 0x24fa553f
	.long	898325340                       ; 0x358b5b5c
	.long	2145883445                      ; 0x7fe79535
	.long	3653728520                      ; 0xd9c77908
	;; [unrolled: 1-line block ×4, first 2 shown]
	.long	904854507                       ; 0x35eefbeb
	.long	3216304963                      ; 0xbfb4eb43
	.long	2373268568                      ; 0x8d753458
	.long	2354362010                      ; 0x8c54b69a
	.long	1245572787                      ; 0x4a3deeb3
	.long	2894748714                      ; 0xac8a5c2a
	.long	2889136188                      ; 0xac34b83c
	.long	3716879184                      ; 0xdd8b1350
	.long	1766013949                      ; 0x69433bfd
	.long	1305712667                      ; 0x4dd3981b
	.long	1227530310                      ; 0x492aa046
	.long	4051221847                      ; 0xf178bd57
	.long	925440190                       ; 0x372918be
	.long	1508686692                      ; 0x59ecbb64
	.long	1104647879                      ; 0x41d796c7
	;; [unrolled: 1-line block ×4, first 2 shown]
	.long	127787091                       ; 0x79de053
	.long	1528394637                      ; 0x5b19738d
	.long	1739640835                      ; 0x67b0d003
	;; [unrolled: 1-line block ×8, first 2 shown]
	.long	811612039                       ; 0x30603787
	.long	1750779366                      ; 0x685ac5e6
	.long	1157474938                      ; 0x44fdaa7a
	.long	514004414                       ; 0x1ea315be
	.long	2264909096                      ; 0x86ffc528
	.long	3730411668                      ; 0xde599094
	;; [unrolled: 1-line block ×4, first 2 shown]
	.long	378288317                       ; 0x168c38bd
	.long	3800023701                      ; 0xe27fc295
	.long	763396788                       ; 0x2d8082b4
	.long	1597708317                      ; 0x5f3b181d
	.long	983953861                       ; 0x3aa5f1c5
	.long	94566098                        ; 0x5a2f6d2
	.long	1548157668                      ; 0x5c4702e4
	.long	3755427117                      ; 0xdfd7452d
	.long	1646496505                      ; 0x62238af9
	.long	3748241449                      ; 0xdf69a029
	.long	3439805936                      ; 0xcd0745f0
	.long	2321644449                      ; 0x8a617ba1
	.long	3805706235                      ; 0xe2d677fb
	.long	4220083901                      ; 0xfb895ebd
	.long	1069923823                      ; 0x3fc5bdef
	.long	2984004391                      ; 0xb1dc4b27
	.long	3824885361                      ; 0xe3fb1e71
	.long	1967477766                      ; 0x75455406
	.long	218978249                       ; 0xd0d57c9
	.long	348955028                       ; 0x14cca194
	.long	3188651823                      ; 0xbe0ef72f
	.long	1008338679                      ; 0x3c1a06f7
	;; [unrolled: 1-line block ×8, first 2 shown]
	.long	319754369                       ; 0x130f1081
	.long	2763991927                      ; 0xa4bf2b77
	.long	1983149629                      ; 0x7634763d
	;; [unrolled: 1-line block ×6, first 2 shown]
	.long	669775440                       ; 0x27ebf650
	.long	886127995                       ; 0x34d13d7b
	.long	1636688014                      ; 0x618de08e
	.long	1251222487                      ; 0x4a9423d7
	;; [unrolled: 1-line block ×10, first 2 shown]
	.long	750726325                       ; 0x2cbf2cb5
	.long	1014534145                      ; 0x3c789001
	.long	2091792357                      ; 0x7cae37e5
	;; [unrolled: 1-line block ×7, first 2 shown]
	.long	61137652                        ; 0x3a4e2f4
	.long	1162051299                      ; 0x45437ee3
	.long	399657268                       ; 0x17d24934
	.long	1682018695                      ; 0x64419187
	.long	2640231287                      ; 0x9d5ebb77
	;; [unrolled: 1-line block ×15, first 2 shown]
	.long	996186898                       ; 0x3b609b12
	.long	3893981177                      ; 0xe8196ff9
	.long	1268272590                      ; 0x4b984dce
	;; [unrolled: 1-line block ×3, first 2 shown]
	.long	952803645                       ; 0x38caa13d
	.long	2184871198                      ; 0x823a7d1e
	.long	3224094011                      ; 0xc02bc53b
	;; [unrolled: 1-line block ×4, first 2 shown]
	.long	738368399                       ; 0x2c029b8f
	.long	4194384320                      ; 0xfa0139c0
	.long	2837011297                      ; 0xa9195b61
	;; [unrolled: 1-line block ×3, first 2 shown]
	.long	367907454                       ; 0x15edd27e
	.long	3772812520                      ; 0xe0e08ce8
	.long	1948901330                      ; 0x7429dfd2
	.long	60430044                        ; 0x39a16dc
	.long	1569835584                      ; 0x5d91ca40
	.long	3160561697                      ; 0xbc625821
	;; [unrolled: 1-line block ×5, first 2 shown]
	.long	412346905                       ; 0x1893ea19
	.long	4020812489                      ; 0xefa8bac9
	.long	3754224996                      ; 0xdfc4ed64
	;; [unrolled: 1-line block ×12, first 2 shown]
	.long	8035741                         ; 0x7a9d9d
	.long	4038904206                      ; 0xf0bcc98e
	.long	2408545792                      ; 0x8f8f7e00
	.long	969543501                       ; 0x39ca0f4d
	.long	3189323143                      ; 0xbe193587
	.long	956553276                       ; 0x3903d83c
	.long	3096241999                      ; 0xb88ce74f
	.long	2566194741                      ; 0x98f50635
	.long	84678421                        ; 0x50c1715
	.long	996778900                       ; 0x3b69a394
	.long	2483934330                      ; 0x940dd47a
	.long	3673546814                      ; 0xdaf5e03e
	;; [unrolled: 1-line block ×3, first 2 shown]
	.long	620385599                       ; 0x24fa553f
	.long	3129088144                      ; 0xba821890
	.long	2145883445                      ; 0x7fe79535
	;; [unrolled: 1-line block ×15, first 2 shown]
	.long	59908073                        ; 0x3921fe9
	.long	4051221847                      ; 0xf178bd57
	.long	925440190                       ; 0x372918be
	.long	1508686692                      ; 0x59ecbb64
	.long	1104647879                      ; 0x41d796c7
	;; [unrolled: 1-line block ×4, first 2 shown]
	.long	127787091                       ; 0x79de053
	.long	1528394637                      ; 0x5b19738d
	.long	1739640835                      ; 0x67b0d003
	.long	62963469                        ; 0x3c0bf0d
	.long	3792639955                      ; 0xe20f17d3
	.long	1450796299                      ; 0x5679650b
	;; [unrolled: 1-line block ×4, first 2 shown]
	.long	667987389                       ; 0x27d0adbd
	.long	811612039                       ; 0x30603787
	.long	1750779366                      ; 0x685ac5e6
	.long	1157474938                      ; 0x44fdaa7a
	.long	514004414                       ; 0x1ea315be
	.long	2737193098                      ; 0xa326408a
	.long	3730411668                      ; 0xde599094
	;; [unrolled: 1-line block ×4, first 2 shown]
	.long	378288317                       ; 0x168c38bd
	.long	3452657469                      ; 0xcdcb5f3d
	.long	763396788                       ; 0x2d8082b4
	.long	1597708317                      ; 0x5f3b181d
	.long	983953861                       ; 0x3aa5f1c5
	.long	94566098                        ; 0x5a2f6d2
	.long	2752347916                      ; 0xa40d7f0c
	.long	3755427117                      ; 0xdfd7452d
	.long	1646496505                      ; 0x62238af9
	.long	3748241449                      ; 0xdf69a029
	.long	3439805936                      ; 0xcd0745f0
	.long	4222757079                      ; 0xfbb228d7
	.long	3805706235                      ; 0xe2d677fb
	.long	4220083901                      ; 0xfb895ebd
	.long	1069923823                      ; 0x3fc5bdef
	.long	2984004391                      ; 0xb1dc4b27
	.long	3887639520                      ; 0xe7b8abe0
	.long	1967477766                      ; 0x75455406
	.long	218978249                       ; 0xd0d57c9
	.long	348955028                       ; 0x14cca194
	.long	3188651823                      ; 0xbe0ef72f
	.long	4168456281                      ; 0xf8759859
	;; [unrolled: 1-line block ×6, first 2 shown]
	.long	814903833                       ; 0x30927219
	.long	1759522678                      ; 0x68e02f76
	.long	319754369                       ; 0x130f1081
	.long	2763991927                      ; 0xa4bf2b77
	.long	1983149629                      ; 0x7634763d
	;; [unrolled: 1-line block ×6, first 2 shown]
	.long	669775440                       ; 0x27ebf650
	.long	1004789460                      ; 0x3be3ded4
	.long	1636688014                      ; 0x618de08e
	;; [unrolled: 1-line block ×10, first 2 shown]
	.long	153421222                       ; 0x92505a6
	.long	750726325                       ; 0x2cbf2cb5
	.long	1014534145                      ; 0x3c789001
	.long	2091792357                      ; 0x7cae37e5
	;; [unrolled: 1-line block ×7, first 2 shown]
	.long	61137652                        ; 0x3a4e2f4
	.long	1455028838                      ; 0x56b9fa66
	.long	399657268                       ; 0x17d24934
	.long	1682018695                      ; 0x64419187
	.long	2640231287                      ; 0x9d5ebb77
	;; [unrolled: 1-line block ×15, first 2 shown]
	.long	996186898                       ; 0x3b609b12
	.long	3893981177                      ; 0xe8196ff9
	.long	1268272590                      ; 0x4b984dce
	;; [unrolled: 1-line block ×3, first 2 shown]
	.long	952803645                       ; 0x38caa13d
	.long	2184871198                      ; 0x823a7d1e
	.long	3224094011                      ; 0xc02bc53b
	;; [unrolled: 1-line block ×3, first 2 shown]
	.long	861379413                       ; 0x33579b55
	.long	738368399                       ; 0x2c029b8f
	.long	4194384320                      ; 0xfa0139c0
	.long	2837011297                      ; 0xa9195b61
	;; [unrolled: 1-line block ×6, first 2 shown]
	.long	60430044                        ; 0x39a16dc
	.long	1569835584                      ; 0x5d91ca40
	.long	581506474                       ; 0x22a915aa
	.long	1655622513                      ; 0x62aecb71
	.long	3179087993                      ; 0xbd7d0879
	;; [unrolled: 1-line block ×3, first 2 shown]
	.long	412346905                       ; 0x1893ea19
	.long	2710043900                      ; 0xa187fcfc
	.long	3754224996                      ; 0xdfc4ed64
	;; [unrolled: 1-line block ×12, first 2 shown]
	.long	8035741                         ; 0x7a9d9d
	.long	4038904206                      ; 0xf0bcc98e
	.long	2408545792                      ; 0x8f8f7e00
	;; [unrolled: 1-line block ×4, first 2 shown]
	.long	956553276                       ; 0x3903d83c
	.long	3096241999                      ; 0xb88ce74f
	.long	2566194741                      ; 0x98f50635
	;; [unrolled: 1-line block ×3, first 2 shown]
	.long	996778900                       ; 0x3b69a394
	.long	2483934330                      ; 0x940dd47a
	.long	3673546814                      ; 0xdaf5e03e
	;; [unrolled: 1-line block ×8, first 2 shown]
	.long	21840044                        ; 0x14d40ac
	.long	4230756652                      ; 0xfc2c392c
	.long	3216304963                      ; 0xbfb4eb43
	;; [unrolled: 1-line block ×10, first 2 shown]
	.long	59908073                        ; 0x3921fe9
	.long	4051221847                      ; 0xf178bd57
	.long	925440190                       ; 0x372918be
	.long	1508686692                      ; 0x59ecbb64
	.long	2938291976                      ; 0xaf22c708
	;; [unrolled: 1-line block ×4, first 2 shown]
	.long	127787091                       ; 0x79de053
	.long	1528394637                      ; 0x5b19738d
	.long	1914923136                      ; 0x72236880
	.long	62963469                        ; 0x3c0bf0d
	.long	3792639955                      ; 0xe20f17d3
	.long	1450796299                      ; 0x5679650b
	;; [unrolled: 1-line block ×3, first 2 shown]
	.long	257322213                       ; 0xf566ce5
	.long	667987389                       ; 0x27d0adbd
	;; [unrolled: 1-line block ×3, first 2 shown]
	.long	1750779366                      ; 0x685ac5e6
	.long	1157474938                      ; 0x44fdaa7a
	;; [unrolled: 1-line block ×9, first 2 shown]
	.long	763396788                       ; 0x2d8082b4
	.long	1597708317                      ; 0x5f3b181d
	.long	983953861                       ; 0x3aa5f1c5
	.long	1337754195                      ; 0x4fbc8253
	.long	2752347916                      ; 0xa40d7f0c
	;; [unrolled: 1-line block ×13, first 2 shown]
	.long	218978249                       ; 0xd0d57c9
	.long	348955028                       ; 0x14cca194
	.long	3425797638                      ; 0xcc318606
	.long	4168456281                      ; 0xf8759859
	;; [unrolled: 1-line block ×6, first 2 shown]
	.long	814903833                       ; 0x30927219
	.long	1759522678                      ; 0x68e02f76
	.long	319754369                       ; 0x130f1081
	.long	2763991927                      ; 0xa4bf2b77
	.long	1079270448                      ; 0x40545c30
	;; [unrolled: 1-line block ×16, first 2 shown]
	.long	983917956                       ; 0x3aa56584
	.long	153421222                       ; 0x92505a6
	;; [unrolled: 1-line block ×3, first 2 shown]
	.long	1014534145                      ; 0x3c789001
	.long	2091792357                      ; 0x7cae37e5
	.long	296882400                       ; 0x11b210e0
	.long	4018591985                      ; 0xef86d8f1
	.long	2038878506                      ; 0x7986d12a
	;; [unrolled: 1-line block ×6, first 2 shown]
	.long	399657268                       ; 0x17d24934
	.long	1682018695                      ; 0x64419187
	.long	2640231287                      ; 0x9d5ebb77
	;; [unrolled: 1-line block ×15, first 2 shown]
	.long	996186898                       ; 0x3b609b12
	.long	3893981177                      ; 0xe8196ff9
	.long	4026533880                      ; 0xf00007f8
	;; [unrolled: 1-line block ×3, first 2 shown]
	.long	952803645                       ; 0x38caa13d
	.long	2184871198                      ; 0x823a7d1e
	.long	3224094011                      ; 0xc02bc53b
	;; [unrolled: 1-line block ×3, first 2 shown]
	.long	861379413                       ; 0x33579b55
	.long	738368399                       ; 0x2c029b8f
	.long	4194384320                      ; 0xfa0139c0
	.long	2837011297                      ; 0xa9195b61
	;; [unrolled: 1-line block ×6, first 2 shown]
	.long	60430044                        ; 0x39a16dc
	.long	4131290878                      ; 0xf63e7efe
	.long	581506474                       ; 0x22a915aa
	.long	1655622513                      ; 0x62aecb71
	.long	3179087993                      ; 0xbd7d0879
	;; [unrolled: 1-line block ×8, first 2 shown]
	.long	593780490                       ; 0x23645f0a
	.long	2704745463                      ; 0xa13723f7
	.long	1167581269                      ; 0x4597e055
	;; [unrolled: 1-line block ×4, first 2 shown]
	.long	621889762                       ; 0x251148e2
	.long	4215403465                      ; 0xfb41f3c9
	.long	1867781671                      ; 0x6f541627
	.long	8035741                         ; 0x7a9d9d
	.long	4038904206                      ; 0xf0bcc98e
	.long	2045289976                      ; 0x79e8a5f8
	;; [unrolled: 1-line block ×4, first 2 shown]
	.long	956553276                       ; 0x3903d83c
	.long	3096241999                      ; 0xb88ce74f
	.long	2188329018                      ; 0x826f403a
	;; [unrolled: 1-line block ×3, first 2 shown]
	.long	996778900                       ; 0x3b69a394
	.long	2483934330                      ; 0x940dd47a
	.long	3673546814                      ; 0xdaf5e03e
	;; [unrolled: 1-line block ×8, first 2 shown]
	.long	21840044                        ; 0x14d40ac
	.long	4230756652                      ; 0xfc2c392c
	.long	3216304963                      ; 0xbfb4eb43
	;; [unrolled: 1-line block ×3, first 2 shown]
	.long	803158556                       ; 0x2fdf3a1c
	.long	1934462999                      ; 0x734d9017
	.long	1600525238                      ; 0x5f6613b6
	;; [unrolled: 1-line block ×4, first 2 shown]
	.long	161827512                       ; 0x9a54ab8
	.long	2822794708                      ; 0xa8406dd4
	.long	59908073                        ; 0x3921fe9
	.long	4051221847                      ; 0xf178bd57
	.long	925440190                       ; 0x372918be
	.long	3599942370                      ; 0xd692c2e2
	.long	2938291976                      ; 0xaf22c708
	;; [unrolled: 1-line block ×4, first 2 shown]
	.long	127787091                       ; 0x79de053
	.long	4082579845                      ; 0xf3573985
	.long	1914923136                      ; 0x72236880
	.long	62963469                        ; 0x3c0bf0d
	.long	3792639955                      ; 0xe20f17d3
	.long	1450796299                      ; 0x5679650b
	;; [unrolled: 1-line block ×3, first 2 shown]
	.long	257322213                       ; 0xf566ce5
	.long	667987389                       ; 0x27d0adbd
	;; [unrolled: 1-line block ×3, first 2 shown]
	.long	1750779366                      ; 0x685ac5e6
	.long	2344204796                      ; 0x8bb9b9fc
	.long	3083649350                      ; 0xb7ccc146
	.long	2737193098                      ; 0xa326408a
	.long	3730411668                      ; 0xde599094
	.long	3308882513                      ; 0xc5398a51
	.long	2765191583                      ; 0xa4d1799f
	.long	2778729422                      ; 0xa5a00bce
	.long	3452657469                      ; 0xcdcb5f3d
	.long	763396788                       ; 0x2d8082b4
	.long	1597708317                      ; 0x5f3b181d
	.long	1854746879                      ; 0x6e8d30ff
	;; [unrolled: 1-line block ×15, first 2 shown]
	.long	218978249                       ; 0xd0d57c9
	.long	2173193841                      ; 0x81884e71
	.long	3425797638                      ; 0xcc318606
	;; [unrolled: 1-line block ×7, first 2 shown]
	.long	814903833                       ; 0x30927219
	.long	1759522678                      ; 0x68e02f76
	.long	319754369                       ; 0x130f1081
	.long	4048528178                      ; 0xf14fa332
	.long	1079270448                      ; 0x40545c30
	;; [unrolled: 1-line block ×5, first 2 shown]
	.long	787253600                       ; 0x2eec8960
	.long	2944573315                      ; 0xaf829f83
	.long	1004789460                      ; 0x3be3ded4
	;; [unrolled: 1-line block ×10, first 2 shown]
	.long	983917956                       ; 0x3aa56584
	.long	153421222                       ; 0x92505a6
	;; [unrolled: 1-line block ×3, first 2 shown]
	.long	1014534145                      ; 0x3c789001
	.long	3951869055                      ; 0xeb8cbc7f
	.long	296882400                       ; 0x11b210e0
	.long	4018591985                      ; 0xef86d8f1
	.long	2038878506                      ; 0x7986d12a
	;; [unrolled: 1-line block ×6, first 2 shown]
	.long	399657268                       ; 0x17d24934
	.long	1682018695                      ; 0x64419187
	.long	3360119279                      ; 0xc84759ef
	;; [unrolled: 1-line block ×5, first 2 shown]
	.long	104562665                       ; 0x63b7fe9
	.long	2827623271                      ; 0xa88a1b67
	.long	249712003                       ; 0xee24d83
	.long	3413221355                      ; 0xcb719feb
	.long	2347164236                      ; 0x8be6e24c
	;; [unrolled: 1-line block ×6, first 2 shown]
	.long	902801951                       ; 0x35cfaa1f
	.long	175637375                       ; 0xa78037f
	.long	3812819970                      ; 0xe3430402
	.long	2162769758                      ; 0x80e93f5e
	;; [unrolled: 1-line block ×4, first 2 shown]
	.long	171494391                       ; 0xa38cbf7
	.long	3765826349                      ; 0xe075f32d
	.long	1725798906                      ; 0x66dd99fa
	.long	345463508                       ; 0x14975ad4
	.long	2481043227                      ; 0x93e1b71b
	.long	226569380                       ; 0xd812ca4
	.long	3250095421                      ; 0xc1b8853d
	.long	1085199388                      ; 0x40aed41c
	;; [unrolled: 1-line block ×8, first 2 shown]
	.long	81212018                        ; 0x4d73272
	.long	3691937144                      ; 0xdc0e7d78
	.long	2477407396                      ; 0x93aa3ca4
	;; [unrolled: 1-line block ×5, first 2 shown]
	.long	252917069                       ; 0xf13354d
	.long	3394860294                      ; 0xca597506
	.long	1092442235                      ; 0x411d587b
	;; [unrolled: 1-line block ×4, first 2 shown]
	.long	431096075                       ; 0x19b2010b
	.long	1701716708                      ; 0x656e22e4
	.long	639881684                       ; 0x2623d1d4
	.long	3066183997                      ; 0xb6c2413d
	.long	3660504927                      ; 0xda2edf5f
	.long	2047274                         ; 0x1f3d2a
	.long	3424756424                      ; 0xcc21a2c8
	.long	760932520                       ; 0x2d5ae8a8
	.long	2457976057                      ; 0x9281bcf9
	.long	1705265011                      ; 0x65a44773
	;; [unrolled: 1-line block ×15, first 2 shown]
	.long	62425157                        ; 0x3b88845
	.long	3662381032                      ; 0xda4b7fe8
	.long	1964107209                      ; 0x7511e5c9
	;; [unrolled: 1-line block ×8, first 2 shown]
	.long	931588693                       ; 0x3786ea55
	.long	2379606585                      ; 0x8dd5ea39
	.long	3643222352                      ; 0xd9272950
	;; [unrolled: 1-line block ×10, first 2 shown]
	.long	635424385                       ; 0x25dfce81
	.long	284062050                       ; 0x10ee7162
	.long	1547163554                      ; 0x5c37d7a2
	.long	3380046528                      ; 0xc9776ac0
	;; [unrolled: 1-line block ×7, first 2 shown]
	.long	303263160                       ; 0x12136db8
	.long	1465965696                      ; 0x5760dc80
	.long	3757919837                      ; 0xdffd4e5d
	;; [unrolled: 1-line block ×10, first 2 shown]
	.long	921764078                       ; 0x36f100ee
	.long	2933305619                      ; 0xaed6b113
	.long	1358097211                      ; 0x50f2eb3b
	;; [unrolled: 1-line block ×4, first 2 shown]
	.long	574590507                       ; 0x223f8e2b
	.long	961767386                       ; 0x395367da
	.long	21100886                        ; 0x141f956
	.long	753746372                       ; 0x2ced41c4
	.long	4072632446                      ; 0xf2bf707e
	.long	733729367                       ; 0x2bbbd257
	.long	3060214669                      ; 0xb6672b8d
	.long	289165105                       ; 0x113c4f31
	.long	426065754                       ; 0x19653f5a
	.long	2036100240                      ; 0x795c6c90
	.long	2172365757                      ; 0x817babbd
	.long	502856627                       ; 0x1df8fbb3
	.long	84490194                        ; 0x50937d2
	.long	2630806596                      ; 0x9cceec44
	.long	1206161269                      ; 0x47e48f75
	;; [unrolled: 1-line block ×3, first 2 shown]
	.long	569581317                       ; 0x21f31f05
	.long	1836947000                      ; 0x6d7d9638
	.long	3125379675                      ; 0xba49825b
	;; [unrolled: 1-line block ×12, first 2 shown]
	.long	873873707                       ; 0x3416412b
	.long	1693894743                      ; 0x64f6c857
	.long	2450223985                      ; 0x920b7371
	.long	754878026                       ; 0x2cfe864a
	.long	1943356492                      ; 0x73d5444c
	.long	401524329                       ; 0x17eec669
	.long	759931885                       ; 0x2d4ba3ed
	;; [unrolled: 1-line block ×5, first 2 shown]
	.long	3358729722                      ; 0xc83225fa
	.long	3649058074                      ; 0xd980351a
	.long	906423787                       ; 0x3606edeb
	.long	1333804225                      ; 0x4f803cc1
	.long	875187278                       ; 0x342a4c4e
	.long	1115838692                      ; 0x428258e4
	.long	2476325972                      ; 0x9399bc54
	;; [unrolled: 1-line block ×4, first 2 shown]
	.size	_ZL22d_xorwow_jump_matrices, 102400

	.type	_ZL32d_lfsr113_sequence_jump_matrices,@object ; @_ZL32d_lfsr113_sequence_jump_matrices
	.p2align	4, 0x0
_ZL32d_lfsr113_sequence_jump_matrices:
	.long	0                               ; 0x0
	.long	0                               ; 0x0
	;; [unrolled: 1-line block ×4, first 2 shown]
	.long	2928597988                      ; 0xae8edbe4
	.long	0                               ; 0x0
	.long	0                               ; 0x0
	.long	0                               ; 0x0
	.long	1562228680                      ; 0x5d1db7c8
	.long	0                               ; 0x0
	.long	0                               ; 0x0
	.long	0                               ; 0x0
	;; [unrolled: 4-line block ×9, first 2 shown]
	.long	498583604                       ; 0x1db7c834
	.long	0                               ; 0x0
	.long	0                               ; 0x0
	;; [unrolled: 1-line block ×3, first 2 shown]
	.long	997167209                       ; 0x3b6f9069
	.long	0                               ; 0x0
	.long	0                               ; 0x0
	.long	0                               ; 0x0
	.long	1994334419                      ; 0x76df20d3
	.long	0                               ; 0x0
	.long	0                               ; 0x0
	.long	0                               ; 0x0
	.long	3988668839                      ; 0xedbe41a7
	.long	0                               ; 0x0
	.long	0                               ; 0x0
	.long	0                               ; 0x0
	.long	3682370382                      ; 0xdb7c834e
	.long	0                               ; 0x0
	.long	0                               ; 0x0
	.long	0                               ; 0x0
	.long	3069773468                      ; 0xb6f9069c
	.long	0                               ; 0x0
	.long	0                               ; 0x0
	.long	0                               ; 0x0
	.long	1844579640                      ; 0x6df20d38
	.long	0                               ; 0x0
	.long	0                               ; 0x0
	.long	0                               ; 0x0
	.long	3689159280                      ; 0xdbe41a70
	.long	0                               ; 0x0
	.long	0                               ; 0x0
	.long	0                               ; 0x0
	.long	3083351264                      ; 0xb7c834e0
	.long	0                               ; 0x0
	.long	0                               ; 0x0
	.long	0                               ; 0x0
	.long	1871735233                      ; 0x6f9069c1
	.long	0                               ; 0x0
	.long	0                               ; 0x0
	.long	0                               ; 0x0
	.long	3743470466                      ; 0xdf20d382
	.long	0                               ; 0x0
	.long	0                               ; 0x0
	.long	0                               ; 0x0
	.long	3191973636                      ; 0xbe41a704
	.long	0                               ; 0x0
	.long	0                               ; 0x0
	.long	0                               ; 0x0
	.long	2088979976                      ; 0x7c834e08
	.long	0                               ; 0x0
	.long	0                               ; 0x0
	.long	0                               ; 0x0
	.long	4177959953                      ; 0xf9069c11
	.long	0                               ; 0x0
	.long	0                               ; 0x0
	.long	0                               ; 0x0
	.long	4060952610                      ; 0xf20d3822
	.long	0                               ; 0x0
	.long	0                               ; 0x0
	.long	0                               ; 0x0
	.long	3826937925                      ; 0xe41a7045
	.long	0                               ; 0x0
	.long	0                               ; 0x0
	.long	0                               ; 0x0
	.long	1723480943                      ; 0x66ba3b6f
	.long	0                               ; 0x0
	.long	0                               ; 0x0
	.long	0                               ; 0x0
	.long	3446961887                      ; 0xcd7476df
	.long	0                               ; 0x0
	.long	0                               ; 0x0
	.long	0                               ; 0x0
	.long	2598956478                      ; 0x9ae8edbe
	.long	0                               ; 0x0
	.long	0                               ; 0x0
	;; [unrolled: 1-line block ×3, first 2 shown]
	.long	902945660                       ; 0x35d1db7c
	.long	0                               ; 0x0
	.long	0                               ; 0x0
	;; [unrolled: 1-line block ×3, first 2 shown]
	.long	1805891321                      ; 0x6ba3b6f9
	.long	0                               ; 0x0
	.long	0                               ; 0x0
	;; [unrolled: 1-line block ×3, first 2 shown]
	.long	3611782642                      ; 0xd7476df2
	.long	0                               ; 0x0
	.long	0                               ; 0x0
	;; [unrolled: 1-line block ×16, first 2 shown]
	.long	1442838528                      ; 0x55fff800
	.long	0                               ; 0x0
	.long	0                               ; 0x0
	.long	0                               ; 0x0
	.long	2885677056                      ; 0xabfff000
	.long	0                               ; 0x0
	.long	0                               ; 0x0
	.long	0                               ; 0x0
	;; [unrolled: 4-line block ×21, first 2 shown]
	.long	131096                          ; 0x20018
	.long	0                               ; 0x0
	.long	0                               ; 0x0
	.long	0                               ; 0x0
	.long	262192                          ; 0x40030
	.long	0                               ; 0x0
	.long	0                               ; 0x0
	.long	0                               ; 0x0
	;; [unrolled: 4-line block ×3, first 2 shown]
	.long	1048768                         ; 0x1000c0
	.long	0                               ; 0x0
	.long	0                               ; 0x0
	.long	0                               ; 0x0
	.long	2097536                         ; 0x200180
	.long	0                               ; 0x0
	.long	0                               ; 0x0
	.long	0                               ; 0x0
	;; [unrolled: 4-line block ×3, first 2 shown]
	.long	1434451456                      ; 0x557ffe00
	.long	0                               ; 0x0
	.long	0                               ; 0x0
	;; [unrolled: 1-line block ×3, first 2 shown]
	.long	2868902912                      ; 0xaafffc00
	.long	0                               ; 0x0
	.long	0                               ; 0x0
	.long	0                               ; 0x0
	.long	0                               ; 0x0
	.long	0                               ; 0x0
	.long	0                               ; 0x0
	.long	0                               ; 0x0
	.long	0                               ; 0x0
	.long	0                               ; 0x0
	.long	0                               ; 0x0
	.long	0                               ; 0x0
	.long	0                               ; 0x0
	.long	0                               ; 0x0
	.long	0                               ; 0x0
	.long	0                               ; 0x0
	.long	0                               ; 0x0
	.long	0                               ; 0x0
	.long	0                               ; 0x0
	.long	0                               ; 0x0
	.long	0                               ; 0x0
	.long	536903683                       ; 0x20008003
	.long	0                               ; 0x0
	.long	0                               ; 0x0
	;; [unrolled: 1-line block ×3, first 2 shown]
	.long	1073807366                      ; 0x40010006
	.long	0                               ; 0x0
	.long	0                               ; 0x0
	;; [unrolled: 1-line block ×3, first 2 shown]
	.long	2147614732                      ; 0x8002000c
	.long	0                               ; 0x0
	.long	0                               ; 0x0
	;; [unrolled: 1-line block ×3, first 2 shown]
	.long	262168                          ; 0x40018
	.long	0                               ; 0x0
	.long	0                               ; 0x0
	;; [unrolled: 1-line block ×3, first 2 shown]
	.long	524336                          ; 0x80030
	.long	0                               ; 0x0
	.long	0                               ; 0x0
	.long	0                               ; 0x0
	.long	1048672                         ; 0x100060
	.long	0                               ; 0x0
	.long	0                               ; 0x0
	.long	0                               ; 0x0
	.long	2097344                         ; 0x2000c0
	;; [unrolled: 4-line block ×4, first 2 shown]
	.long	0                               ; 0x0
	.long	0                               ; 0x0
	.long	0                               ; 0x0
	.long	16778752                        ; 0x1000600
	.long	0                               ; 0x0
	.long	0                               ; 0x0
	.long	0                               ; 0x0
	.long	33557504                        ; 0x2000c00
	.long	0                               ; 0x0
	.long	0                               ; 0x0
	.long	0                               ; 0x0
	.long	67115008                        ; 0x4001800
	.long	0                               ; 0x0
	.long	0                               ; 0x0
	.long	0                               ; 0x0
	.long	134230016                       ; 0x8003000
	.long	0                               ; 0x0
	.long	0                               ; 0x0
	.long	0                               ; 0x0
	.long	268460033                       ; 0x10006001
	;; [unrolled: 4-line block ×3, first 2 shown]
	.long	0                               ; 0x0
	.long	0                               ; 0x0
	.long	0                               ; 0x0
	.long	1610678276                      ; 0x60010004
	.long	0                               ; 0x0
	.long	0                               ; 0x0
	.long	0                               ; 0x0
	.long	3221356552                      ; 0xc0020008
	;; [unrolled: 4-line block ×3, first 2 shown]
	.long	0                               ; 0x0
	.long	0                               ; 0x0
	;; [unrolled: 1-line block ×3, first 2 shown]
	.long	524320                          ; 0x80020
	.long	0                               ; 0x0
	.long	0                               ; 0x0
	.long	0                               ; 0x0
	.long	1048640                         ; 0x100040
	.long	0                               ; 0x0
	.long	0                               ; 0x0
	.long	0                               ; 0x0
	.long	2097280                         ; 0x200080
	;; [unrolled: 4-line block ×4, first 2 shown]
	.long	0                               ; 0x0
	.long	0                               ; 0x0
	.long	0                               ; 0x0
	.long	16778240                        ; 0x1000400
	.long	0                               ; 0x0
	.long	0                               ; 0x0
	.long	0                               ; 0x0
	.long	33556480                        ; 0x2000800
	.long	0                               ; 0x0
	.long	0                               ; 0x0
	.long	0                               ; 0x0
	.long	67112960                        ; 0x4001000
	.long	0                               ; 0x0
	.long	0                               ; 0x0
	;; [unrolled: 1-line block ×3, first 2 shown]
	.long	134225920                       ; 0x8002000
	.long	0                               ; 0x0
	.long	0                               ; 0x0
	.long	0                               ; 0x0
	.long	268451841                       ; 0x10004001
	.long	0                               ; 0x0
	.long	0                               ; 0x0
	;; [unrolled: 1-line block ×32, first 2 shown]
	.long	144703526                       ; 0x8a00026
	.long	0                               ; 0x0
	.long	0                               ; 0x0
	.long	0                               ; 0x0
	.long	289407053                       ; 0x1140004d
	.long	0                               ; 0x0
	.long	0                               ; 0x0
	.long	0                               ; 0x0
	;; [unrolled: 4-line block ×3, first 2 shown]
	.long	1157628214                      ; 0x45000136
	.long	0                               ; 0x0
	.long	0                               ; 0x0
	;; [unrolled: 1-line block ×3, first 2 shown]
	.long	2315256429                      ; 0x8a00026d
	.long	0                               ; 0x0
	.long	0                               ; 0x0
	;; [unrolled: 1-line block ×3, first 2 shown]
	.long	335545562                       ; 0x140004da
	.long	0                               ; 0x0
	.long	0                               ; 0x0
	;; [unrolled: 1-line block ×3, first 2 shown]
	.long	671091124                       ; 0x280009b4
	.long	0                               ; 0x0
	.long	0                               ; 0x0
	.long	0                               ; 0x0
	.long	1342182248                      ; 0x50001368
	.long	0                               ; 0x0
	.long	0                               ; 0x0
	.long	0                               ; 0x0
	.long	2684364496                      ; 0xa00026d0
	.long	0                               ; 0x0
	.long	0                               ; 0x0
	.long	0                               ; 0x0
	.long	1073761696                      ; 0x40004da0
	.long	0                               ; 0x0
	.long	0                               ; 0x0
	.long	0                               ; 0x0
	.long	2147523392                      ; 0x80009b40
	.long	0                               ; 0x0
	.long	0                               ; 0x0
	.long	0                               ; 0x0
	.long	79488                           ; 0x13680
	.long	0                               ; 0x0
	.long	0                               ; 0x0
	.long	0                               ; 0x0
	.long	158976                          ; 0x26d00
	.long	0                               ; 0x0
	.long	0                               ; 0x0
	.long	0                               ; 0x0
	.long	317952                          ; 0x4da00
	;; [unrolled: 4-line block ×3, first 2 shown]
	.long	0                               ; 0x0
	.long	0                               ; 0x0
	.long	0                               ; 0x0
	.long	1271808                         ; 0x136800
	.long	0                               ; 0x0
	.long	0                               ; 0x0
	.long	0                               ; 0x0
	.long	2543616                         ; 0x26d000
	;; [unrolled: 4-line block ×3, first 2 shown]
	.long	0                               ; 0x0
	.long	0                               ; 0x0
	.long	0                               ; 0x0
	.long	10174466                        ; 0x9b4002
	.long	0                               ; 0x0
	.long	0                               ; 0x0
	.long	0                               ; 0x0
	.long	20348932                        ; 0x1368004
	;; [unrolled: 4-line block ×7, first 2 shown]
	.long	0                               ; 0x0
	.long	0                               ; 0x0
	;; [unrolled: 1-line block ×4, first 2 shown]
	.long	1874778401                      ; 0x6fbed921
	.long	0                               ; 0x0
	.long	0                               ; 0x0
	.long	0                               ; 0x0
	.long	3749556802                      ; 0xdf7db242
	.long	0                               ; 0x0
	.long	0                               ; 0x0
	.long	0                               ; 0x0
	;; [unrolled: 4-line block ×21, first 2 shown]
	.long	606077476                       ; 0x24200224
	.long	0                               ; 0x0
	.long	0                               ; 0x0
	;; [unrolled: 1-line block ×3, first 2 shown]
	.long	1212154952                      ; 0x48400448
	.long	0                               ; 0x0
	.long	0                               ; 0x0
	.long	0                               ; 0x0
	.long	2424309905                      ; 0x90800891
	.long	0                               ; 0x0
	.long	0                               ; 0x0
	;; [unrolled: 1-line block ×3, first 2 shown]
	.long	553652514                       ; 0x21001122
	.long	0                               ; 0x0
	.long	0                               ; 0x0
	;; [unrolled: 1-line block ×3, first 2 shown]
	.long	767490916                       ; 0x2dbefb64
	.long	0                               ; 0x0
	.long	0                               ; 0x0
	.long	0                               ; 0x0
	.long	1534981833                      ; 0x5b7df6c9
	.long	0                               ; 0x0
	.long	0                               ; 0x0
	.long	0                               ; 0x0
	.long	3069963666                      ; 0xb6fbed92
	;; [unrolled: 4-line block ×5, first 2 shown]
	.long	0                               ; 0x0
	.long	0                               ; 0x0
	;; [unrolled: 1-line block ×16, first 2 shown]
	.long	16                              ; 0x10
	.long	0                               ; 0x0
	.long	0                               ; 0x0
	.long	0                               ; 0x0
	.long	32                              ; 0x20
	.long	0                               ; 0x0
	.long	0                               ; 0x0
	.long	0                               ; 0x0
	;; [unrolled: 4-line block ×3, first 2 shown]
	.long	128                             ; 0x80
	.long	0                               ; 0x0
	.long	0                               ; 0x0
	.long	0                               ; 0x0
	.long	256                             ; 0x100
	.long	0                               ; 0x0
	.long	0                               ; 0x0
	.long	0                               ; 0x0
	;; [unrolled: 4-line block ×3, first 2 shown]
	.long	1024                            ; 0x400
	.long	0                               ; 0x0
	.long	0                               ; 0x0
	.long	0                               ; 0x0
	.long	2048                            ; 0x800
	.long	0                               ; 0x0
	.long	0                               ; 0x0
	.long	0                               ; 0x0
	;; [unrolled: 4-line block ×4, first 2 shown]
	.long	16384                           ; 0x4000
	.long	0                               ; 0x0
	.long	0                               ; 0x0
	.long	0                               ; 0x0
	.long	32768                           ; 0x8000
	.long	0                               ; 0x0
	.long	0                               ; 0x0
	.long	0                               ; 0x0
	.long	65536                           ; 0x10000
	.long	0                               ; 0x0
	.long	0                               ; 0x0
	.long	0                               ; 0x0
	.long	131072                          ; 0x20000
	.long	0                               ; 0x0
	.long	0                               ; 0x0
	.long	0                               ; 0x0
	.long	262144                          ; 0x40000
	.long	0                               ; 0x0
	.long	0                               ; 0x0
	.long	0                               ; 0x0
	.long	524288                          ; 0x80000
	.long	0                               ; 0x0
	.long	0                               ; 0x0
	.long	0                               ; 0x0
	.long	1048576                         ; 0x100000
	.long	0                               ; 0x0
	.long	0                               ; 0x0
	.long	0                               ; 0x0
	.long	2097152                         ; 0x200000
	.long	0                               ; 0x0
	.long	0                               ; 0x0
	.long	0                               ; 0x0
	;; [unrolled: 4-line block ×4, first 2 shown]
	.long	16777216                        ; 0x1000000
	.long	0                               ; 0x0
	.long	0                               ; 0x0
	.long	0                               ; 0x0
	.long	33554432                        ; 0x2000000
	.long	0                               ; 0x0
	.long	0                               ; 0x0
	.long	0                               ; 0x0
	;; [unrolled: 4-line block ×3, first 2 shown]
	.long	134217729                       ; 0x8000001
	.long	0                               ; 0x0
	.long	0                               ; 0x0
	.long	0                               ; 0x0
	.long	268435458                       ; 0x10000002
	.long	0                               ; 0x0
	.long	0                               ; 0x0
	.long	0                               ; 0x0
	.long	536870917                       ; 0x20000005
	.long	0                               ; 0x0
	.long	0                               ; 0x0
	.long	0                               ; 0x0
	.long	1073741834                      ; 0x4000000a
	.long	0                               ; 0x0
	.long	0                               ; 0x0
	;; [unrolled: 1-line block ×3, first 2 shown]
	.long	2147483652                      ; 0x80000004
	.long	0                               ; 0x0
	.long	0                               ; 0x0
	;; [unrolled: 1-line block ×24, first 2 shown]
	.long	262152                          ; 0x40008
	.long	0                               ; 0x0
	.long	0                               ; 0x0
	;; [unrolled: 1-line block ×3, first 2 shown]
	.long	524304                          ; 0x80010
	.long	0                               ; 0x0
	.long	0                               ; 0x0
	.long	0                               ; 0x0
	.long	1048608                         ; 0x100020
	.long	0                               ; 0x0
	.long	0                               ; 0x0
	.long	0                               ; 0x0
	.long	2097216                         ; 0x200040
	;; [unrolled: 4-line block ×4, first 2 shown]
	.long	0                               ; 0x0
	.long	0                               ; 0x0
	.long	0                               ; 0x0
	.long	16777728                        ; 0x1000200
	.long	0                               ; 0x0
	.long	0                               ; 0x0
	.long	0                               ; 0x0
	.long	33555456                        ; 0x2000400
	;; [unrolled: 4-line block ×3, first 2 shown]
	.long	0                               ; 0x0
	.long	0                               ; 0x0
	.long	0                               ; 0x0
	.long	134221824                       ; 0x8001000
	.long	0                               ; 0x0
	.long	0                               ; 0x0
	.long	0                               ; 0x0
	.long	268443649                       ; 0x10002001
	;; [unrolled: 4-line block ×3, first 2 shown]
	.long	0                               ; 0x0
	.long	0                               ; 0x0
	;; [unrolled: 1-line block ×3, first 2 shown]
	.long	1073774597                      ; 0x40008005
	.long	0                               ; 0x0
	.long	0                               ; 0x0
	;; [unrolled: 1-line block ×3, first 2 shown]
	.long	2147549194                      ; 0x8001000a
	.long	0                               ; 0x0
	.long	0                               ; 0x0
	;; [unrolled: 1-line block ×3, first 2 shown]
	.long	131092                          ; 0x20014
	.long	0                               ; 0x0
	.long	0                               ; 0x0
	;; [unrolled: 1-line block ×3, first 2 shown]
	.long	32                              ; 0x20
	.long	0                               ; 0x0
	.long	0                               ; 0x0
	;; [unrolled: 1-line block ×3, first 2 shown]
	.long	64                              ; 0x40
	.long	0                               ; 0x0
	.long	0                               ; 0x0
	.long	0                               ; 0x0
	.long	128                             ; 0x80
	.long	0                               ; 0x0
	.long	0                               ; 0x0
	.long	0                               ; 0x0
	.long	256                             ; 0x100
	;; [unrolled: 4-line block ×3, first 2 shown]
	.long	0                               ; 0x0
	.long	0                               ; 0x0
	.long	0                               ; 0x0
	.long	1024                            ; 0x400
	.long	0                               ; 0x0
	.long	0                               ; 0x0
	.long	0                               ; 0x0
	.long	2048                            ; 0x800
	;; [unrolled: 4-line block ×4, first 2 shown]
	.long	0                               ; 0x0
	.long	0                               ; 0x0
	.long	0                               ; 0x0
	.long	16384                           ; 0x4000
	.long	0                               ; 0x0
	.long	0                               ; 0x0
	.long	0                               ; 0x0
	.long	32769                           ; 0x8001
	;; [unrolled: 4-line block ×3, first 2 shown]
	.long	0                               ; 0x0
	.long	0                               ; 0x0
	;; [unrolled: 1-line block ×3, first 2 shown]
	.long	131076                          ; 0x20004
	.long	0                               ; 0x0
	.long	0                               ; 0x0
	;; [unrolled: 1-line block ×32, first 2 shown]
	.long	135049252                       ; 0x80cb024
	.long	0                               ; 0x0
	.long	0                               ; 0x0
	.long	0                               ; 0x0
	.long	270098504                       ; 0x10196048
	.long	0                               ; 0x0
	.long	0                               ; 0x0
	.long	0                               ; 0x0
	;; [unrolled: 4-line block ×3, first 2 shown]
	.long	1080394017                      ; 0x40658121
	.long	0                               ; 0x0
	.long	0                               ; 0x0
	;; [unrolled: 1-line block ×3, first 2 shown]
	.long	2160788035                      ; 0x80cb0243
	.long	0                               ; 0x0
	.long	0                               ; 0x0
	;; [unrolled: 1-line block ×3, first 2 shown]
	.long	26608774                        ; 0x1960486
	.long	0                               ; 0x0
	.long	0                               ; 0x0
	;; [unrolled: 1-line block ×3, first 2 shown]
	.long	53217549                        ; 0x32c090d
	.long	0                               ; 0x0
	.long	0                               ; 0x0
	.long	0                               ; 0x0
	.long	106435098                       ; 0x658121a
	.long	0                               ; 0x0
	.long	0                               ; 0x0
	.long	0                               ; 0x0
	.long	212870196                       ; 0xcb02434
	;; [unrolled: 4-line block ×4, first 2 shown]
	.long	0                               ; 0x0
	.long	0                               ; 0x0
	.long	0                               ; 0x0
	.long	1702961572                      ; 0x658121a4
	.long	0                               ; 0x0
	.long	0                               ; 0x0
	.long	0                               ; 0x0
	.long	3405923145                      ; 0xcb024349
	;; [unrolled: 4-line block ×3, first 2 shown]
	.long	0                               ; 0x0
	.long	0                               ; 0x0
	;; [unrolled: 1-line block ×3, first 2 shown]
	.long	738790694                       ; 0x2c090d26
	.long	0                               ; 0x0
	.long	0                               ; 0x0
	.long	0                               ; 0x0
	.long	1477581388                      ; 0x58121a4c
	.long	0                               ; 0x0
	.long	0                               ; 0x0
	.long	0                               ; 0x0
	.long	2955162776                      ; 0xb0243498
	.long	0                               ; 0x0
	.long	0                               ; 0x0
	.long	0                               ; 0x0
	.long	1615358257                      ; 0x60486931
	.long	0                               ; 0x0
	.long	0                               ; 0x0
	.long	0                               ; 0x0
	.long	3230716514                      ; 0xc090d262
	.long	0                               ; 0x0
	.long	0                               ; 0x0
	.long	0                               ; 0x0
	.long	2166465732                      ; 0x8121a4c4
	.long	0                               ; 0x0
	.long	0                               ; 0x0
	.long	0                               ; 0x0
	.long	37964168                        ; 0x2434988
	.long	0                               ; 0x0
	.long	0                               ; 0x0
	.long	0                               ; 0x0
	.long	75928336                        ; 0x4869310
	;; [unrolled: 4-line block ×5, first 2 shown]
	.long	0                               ; 0x0
	.long	0                               ; 0x0
	;; [unrolled: 1-line block ×4, first 2 shown]
	.long	882001920                       ; 0x34924800
	.long	0                               ; 0x0
	.long	0                               ; 0x0
	.long	0                               ; 0x0
	.long	1764003840                      ; 0x69249000
	.long	0                               ; 0x0
	.long	0                               ; 0x0
	.long	0                               ; 0x0
	.long	3528007680                      ; 0xd2492000
	;; [unrolled: 4-line block ×5, first 2 shown]
	.long	0                               ; 0x0
	.long	0                               ; 0x0
	.long	0                               ; 0x0
	.long	613548040                       ; 0x24920008
	.long	0                               ; 0x0
	.long	0                               ; 0x0
	.long	0                               ; 0x0
	.long	1227096080                      ; 0x49240010
	.long	0                               ; 0x0
	.long	0                               ; 0x0
	.long	0                               ; 0x0
	.long	2454192160                      ; 0x92480020
	.long	0                               ; 0x0
	.long	0                               ; 0x0
	.long	0                               ; 0x0
	.long	613417024                       ; 0x24900040
	.long	0                               ; 0x0
	.long	0                               ; 0x0
	.long	0                               ; 0x0
	.long	1226834048                      ; 0x49200080
	.long	0                               ; 0x0
	.long	0                               ; 0x0
	.long	0                               ; 0x0
	.long	2453668096                      ; 0x92400100
	;; [unrolled: 12-line block ×5, first 2 shown]
	.long	0                               ; 0x0
	.long	0                               ; 0x0
	;; [unrolled: 1-line block ×3, first 2 shown]
	.long	262162                          ; 0x40012
	.long	0                               ; 0x0
	.long	0                               ; 0x0
	;; [unrolled: 1-line block ×3, first 2 shown]
	.long	524324                          ; 0x80024
	.long	0                               ; 0x0
	.long	0                               ; 0x0
	;; [unrolled: 1-line block ×3, first 2 shown]
	.long	1048648                         ; 0x100048
	.long	0                               ; 0x0
	.long	0                               ; 0x0
	;; [unrolled: 1-line block ×3, first 2 shown]
	.long	2097296                         ; 0x200090
	.long	0                               ; 0x0
	.long	0                               ; 0x0
	;; [unrolled: 1-line block ×3, first 2 shown]
	.long	886196512                       ; 0x34d24920
	.long	0                               ; 0x0
	.long	0                               ; 0x0
	.long	0                               ; 0x0
	.long	1772393024                      ; 0x69a49240
	.long	0                               ; 0x0
	.long	0                               ; 0x0
	.long	0                               ; 0x0
	.long	3544786048                      ; 0xd3492480
	;; [unrolled: 4-line block ×5, first 2 shown]
	.long	0                               ; 0x0
	.long	0                               ; 0x0
	;; [unrolled: 1-line block ×16, first 2 shown]
	.long	128                             ; 0x80
	.long	0                               ; 0x0
	.long	0                               ; 0x0
	.long	0                               ; 0x0
	.long	256                             ; 0x100
	.long	0                               ; 0x0
	.long	0                               ; 0x0
	.long	0                               ; 0x0
	;; [unrolled: 4-line block ×3, first 2 shown]
	.long	1024                            ; 0x400
	.long	0                               ; 0x0
	.long	0                               ; 0x0
	.long	0                               ; 0x0
	.long	2048                            ; 0x800
	.long	0                               ; 0x0
	.long	0                               ; 0x0
	.long	0                               ; 0x0
	;; [unrolled: 4-line block ×4, first 2 shown]
	.long	16384                           ; 0x4000
	.long	0                               ; 0x0
	.long	0                               ; 0x0
	.long	0                               ; 0x0
	.long	32768                           ; 0x8000
	.long	0                               ; 0x0
	.long	0                               ; 0x0
	.long	0                               ; 0x0
	.long	65536                           ; 0x10000
	.long	0                               ; 0x0
	.long	0                               ; 0x0
	.long	0                               ; 0x0
	.long	131072                          ; 0x20000
	.long	0                               ; 0x0
	.long	0                               ; 0x0
	.long	0                               ; 0x0
	.long	262144                          ; 0x40000
	.long	0                               ; 0x0
	.long	0                               ; 0x0
	.long	0                               ; 0x0
	;; [unrolled: 4-line block ×3, first 2 shown]
	.long	1048576                         ; 0x100000
	.long	0                               ; 0x0
	.long	0                               ; 0x0
	.long	0                               ; 0x0
	.long	2097152                         ; 0x200000
	.long	0                               ; 0x0
	.long	0                               ; 0x0
	.long	0                               ; 0x0
	;; [unrolled: 4-line block ×4, first 2 shown]
	.long	16777216                        ; 0x1000000
	.long	0                               ; 0x0
	.long	0                               ; 0x0
	.long	0                               ; 0x0
	.long	33554432                        ; 0x2000000
	.long	0                               ; 0x0
	.long	0                               ; 0x0
	.long	0                               ; 0x0
	;; [unrolled: 4-line block ×3, first 2 shown]
	.long	134217729                       ; 0x8000001
	.long	0                               ; 0x0
	.long	0                               ; 0x0
	.long	0                               ; 0x0
	.long	268435458                       ; 0x10000002
	.long	0                               ; 0x0
	.long	0                               ; 0x0
	.long	0                               ; 0x0
	;; [unrolled: 4-line block ×3, first 2 shown]
	.long	1073741834                      ; 0x4000000a
	.long	0                               ; 0x0
	.long	0                               ; 0x0
	;; [unrolled: 1-line block ×3, first 2 shown]
	.long	2147483668                      ; 0x80000014
	.long	0                               ; 0x0
	.long	0                               ; 0x0
	.long	0                               ; 0x0
	.long	40                              ; 0x28
	.long	0                               ; 0x0
	.long	0                               ; 0x0
	.long	0                               ; 0x0
	.long	80                              ; 0x50
	;; [unrolled: 4-line block ×4, first 2 shown]
	.long	0                               ; 0x0
	.long	0                               ; 0x0
	;; [unrolled: 1-line block ×20, first 2 shown]
	.long	1073774613                      ; 0x40008015
	.long	0                               ; 0x0
	.long	0                               ; 0x0
	;; [unrolled: 1-line block ×3, first 2 shown]
	.long	2147549226                      ; 0x8001002a
	.long	0                               ; 0x0
	.long	0                               ; 0x0
	.long	0                               ; 0x0
	.long	131156                          ; 0x20054
	.long	0                               ; 0x0
	.long	0                               ; 0x0
	.long	0                               ; 0x0
	.long	262312                          ; 0x400a8
	;; [unrolled: 4-line block ×3, first 2 shown]
	.long	0                               ; 0x0
	.long	0                               ; 0x0
	.long	0                               ; 0x0
	.long	1049248                         ; 0x1002a0
	.long	0                               ; 0x0
	.long	0                               ; 0x0
	.long	0                               ; 0x0
	.long	2098496                         ; 0x200540
	;; [unrolled: 4-line block ×4, first 2 shown]
	.long	0                               ; 0x0
	.long	0                               ; 0x0
	.long	0                               ; 0x0
	.long	16787968                        ; 0x1002a00
	.long	0                               ; 0x0
	.long	0                               ; 0x0
	.long	0                               ; 0x0
	.long	33575936                        ; 0x2005400
	;; [unrolled: 4-line block ×3, first 2 shown]
	.long	0                               ; 0x0
	.long	0                               ; 0x0
	.long	0                               ; 0x0
	.long	134303746                       ; 0x8015002
	.long	0                               ; 0x0
	.long	0                               ; 0x0
	.long	0                               ; 0x0
	.long	268607492                       ; 0x1002a004
	.long	0                               ; 0x0
	.long	0                               ; 0x0
	.long	0                               ; 0x0
	.long	537214984                       ; 0x20054008
	.long	0                               ; 0x0
	.long	0                               ; 0x0
	;; [unrolled: 1-line block ×3, first 2 shown]
	.long	655364                          ; 0xa0004
	.long	0                               ; 0x0
	.long	0                               ; 0x0
	.long	0                               ; 0x0
	.long	1310728                         ; 0x140008
	.long	0                               ; 0x0
	.long	0                               ; 0x0
	.long	0                               ; 0x0
	.long	2621456                         ; 0x280010
	.long	0                               ; 0x0
	.long	0                               ; 0x0
	.long	0                               ; 0x0
	.long	5242912                         ; 0x500020
	.long	0                               ; 0x0
	.long	0                               ; 0x0
	.long	0                               ; 0x0
	.long	10485824                        ; 0xa00040
	.long	0                               ; 0x0
	.long	0                               ; 0x0
	.long	0                               ; 0x0
	.long	20971648                        ; 0x1400080
	;; [unrolled: 4-line block ×4, first 2 shown]
	.long	0                               ; 0x0
	.long	0                               ; 0x0
	.long	0                               ; 0x0
	.long	167773184                       ; 0xa000400
	.long	0                               ; 0x0
	.long	0                               ; 0x0
	.long	0                               ; 0x0
	.long	335546369                       ; 0x14000801
	;; [unrolled: 4-line block ×3, first 2 shown]
	.long	0                               ; 0x0
	.long	0                               ; 0x0
	;; [unrolled: 1-line block ×3, first 2 shown]
	.long	1342185477                      ; 0x50002005
	.long	0                               ; 0x0
	.long	0                               ; 0x0
	;; [unrolled: 1-line block ×3, first 2 shown]
	.long	2684370954                      ; 0xa000400a
	.long	0                               ; 0x0
	.long	0                               ; 0x0
	;; [unrolled: 1-line block ×32, first 2 shown]
	.long	3961969350                      ; 0xec26dac6
	.long	0                               ; 0x0
	.long	0                               ; 0x0
	.long	0                               ; 0x0
	.long	3628971405                      ; 0xd84db58d
	.long	0                               ; 0x0
	.long	0                               ; 0x0
	.long	0                               ; 0x0
	;; [unrolled: 4-line block ×6, first 2 shown]
	.long	162967970                       ; 0x9b6b1a2
	.long	0                               ; 0x0
	.long	0                               ; 0x0
	.long	0                               ; 0x0
	.long	325935940                       ; 0x136d6344
	.long	0                               ; 0x0
	.long	0                               ; 0x0
	.long	0                               ; 0x0
	.long	651871880                       ; 0x26dac688
	.long	0                               ; 0x0
	.long	0                               ; 0x0
	.long	0                               ; 0x0
	.long	1303743760                      ; 0x4db58d10
	.long	0                               ; 0x0
	.long	0                               ; 0x0
	;; [unrolled: 1-line block ×3, first 2 shown]
	.long	2607487520                      ; 0x9b6b1a20
	.long	0                               ; 0x0
	.long	0                               ; 0x0
	;; [unrolled: 1-line block ×3, first 2 shown]
	.long	920007744                       ; 0x36d63440
	.long	0                               ; 0x0
	.long	0                               ; 0x0
	.long	0                               ; 0x0
	.long	1840015488                      ; 0x6dac6880
	.long	0                               ; 0x0
	.long	0                               ; 0x0
	.long	0                               ; 0x0
	.long	3680030976                      ; 0xdb58d100
	;; [unrolled: 4-line block ×13, first 2 shown]
	.long	0                               ; 0x0
	.long	0                               ; 0x0
	.long	0                               ; 0x0
	.long	0                               ; 0x0
	.long	1024                            ; 0x400
	.long	0                               ; 0x0
	.long	0                               ; 0x0
	.long	0                               ; 0x0
	.long	2048                            ; 0x800
	.long	0                               ; 0x0
	.long	0                               ; 0x0
	.long	0                               ; 0x0
	;; [unrolled: 4-line block ×4, first 2 shown]
	.long	16384                           ; 0x4000
	.long	0                               ; 0x0
	.long	0                               ; 0x0
	.long	0                               ; 0x0
	.long	32768                           ; 0x8000
	.long	0                               ; 0x0
	.long	0                               ; 0x0
	.long	0                               ; 0x0
	;; [unrolled: 4-line block ×3, first 2 shown]
	.long	131072                          ; 0x20000
	.long	0                               ; 0x0
	.long	0                               ; 0x0
	.long	0                               ; 0x0
	.long	262144                          ; 0x40000
	.long	0                               ; 0x0
	.long	0                               ; 0x0
	.long	0                               ; 0x0
	;; [unrolled: 4-line block ×3, first 2 shown]
	.long	1048576                         ; 0x100000
	.long	0                               ; 0x0
	.long	0                               ; 0x0
	.long	0                               ; 0x0
	.long	2097152                         ; 0x200000
	.long	0                               ; 0x0
	.long	0                               ; 0x0
	.long	0                               ; 0x0
	;; [unrolled: 4-line block ×4, first 2 shown]
	.long	16777216                        ; 0x1000000
	.long	0                               ; 0x0
	.long	0                               ; 0x0
	.long	0                               ; 0x0
	.long	33554433                        ; 0x2000001
	.long	0                               ; 0x0
	.long	0                               ; 0x0
	.long	0                               ; 0x0
	;; [unrolled: 4-line block ×3, first 2 shown]
	.long	134217732                       ; 0x8000004
	.long	0                               ; 0x0
	.long	0                               ; 0x0
	.long	0                               ; 0x0
	.long	268435464                       ; 0x10000008
	.long	0                               ; 0x0
	.long	0                               ; 0x0
	.long	0                               ; 0x0
	;; [unrolled: 4-line block ×3, first 2 shown]
	.long	1073741856                      ; 0x40000020
	.long	0                               ; 0x0
	.long	0                               ; 0x0
	;; [unrolled: 1-line block ×3, first 2 shown]
	.long	2147483713                      ; 0x80000041
	.long	0                               ; 0x0
	.long	0                               ; 0x0
	.long	0                               ; 0x0
	.long	130                             ; 0x82
	.long	0                               ; 0x0
	.long	0                               ; 0x0
	.long	0                               ; 0x0
	.long	260                             ; 0x104
	;; [unrolled: 4-line block ×3, first 2 shown]
	.long	0                               ; 0x0
	.long	0                               ; 0x0
	.long	0                               ; 0x0
	.long	16                              ; 0x10
	.long	0                               ; 0x0
	.long	0                               ; 0x0
	.long	0                               ; 0x0
	.long	32                              ; 0x20
	;; [unrolled: 4-line block ×3, first 2 shown]
	.long	0                               ; 0x0
	.long	0                               ; 0x0
	.long	0                               ; 0x0
	.long	128                             ; 0x80
	.long	0                               ; 0x0
	.long	0                               ; 0x0
	.long	0                               ; 0x0
	.long	256                             ; 0x100
	;; [unrolled: 4-line block ×3, first 2 shown]
	.long	0                               ; 0x0
	.long	0                               ; 0x0
	;; [unrolled: 1-line block ×16, first 2 shown]
	.long	524288                          ; 0x80000
	.long	0                               ; 0x0
	.long	0                               ; 0x0
	.long	0                               ; 0x0
	.long	1048576                         ; 0x100000
	.long	0                               ; 0x0
	.long	0                               ; 0x0
	.long	0                               ; 0x0
	.long	2097152                         ; 0x200000
	;; [unrolled: 4-line block ×4, first 2 shown]
	.long	0                               ; 0x0
	.long	0                               ; 0x0
	.long	0                               ; 0x0
	.long	16777216                        ; 0x1000000
	.long	0                               ; 0x0
	.long	0                               ; 0x0
	.long	0                               ; 0x0
	.long	33554432                        ; 0x2000000
	;; [unrolled: 4-line block ×3, first 2 shown]
	.long	0                               ; 0x0
	.long	0                               ; 0x0
	.long	0                               ; 0x0
	.long	134217729                       ; 0x8000001
	.long	0                               ; 0x0
	.long	0                               ; 0x0
	.long	0                               ; 0x0
	.long	268435458                       ; 0x10000002
	;; [unrolled: 4-line block ×3, first 2 shown]
	.long	0                               ; 0x0
	.long	0                               ; 0x0
	;; [unrolled: 1-line block ×3, first 2 shown]
	.long	1073741834                      ; 0x4000000a
	.long	0                               ; 0x0
	.long	0                               ; 0x0
	;; [unrolled: 1-line block ×3, first 2 shown]
	.long	2147483668                      ; 0x80000014
	.long	0                               ; 0x0
	.long	0                               ; 0x0
	;; [unrolled: 1-line block ×3, first 2 shown]
	.long	40                              ; 0x28
	.long	0                               ; 0x0
	.long	0                               ; 0x0
	;; [unrolled: 1-line block ×3, first 2 shown]
	.long	80                              ; 0x50
	.long	0                               ; 0x0
	.long	0                               ; 0x0
	.long	0                               ; 0x0
	.long	160                             ; 0xa0
	.long	0                               ; 0x0
	.long	0                               ; 0x0
	.long	0                               ; 0x0
	.long	320                             ; 0x140
	;; [unrolled: 4-line block ×3, first 2 shown]
	.long	0                               ; 0x0
	.long	0                               ; 0x0
	.long	0                               ; 0x0
	.long	1280                            ; 0x500
	.long	0                               ; 0x0
	.long	0                               ; 0x0
	.long	0                               ; 0x0
	.long	2560                            ; 0xa00
	;; [unrolled: 4-line block ×3, first 2 shown]
	.long	0                               ; 0x0
	.long	0                               ; 0x0
	.long	0                               ; 0x0
	.long	10240                           ; 0x2800
	.long	0                               ; 0x0
	.long	0                               ; 0x0
	.long	0                               ; 0x0
	.long	20480                           ; 0x5000
	;; [unrolled: 4-line block ×4, first 2 shown]
	.long	0                               ; 0x0
	.long	0                               ; 0x0
	.long	0                               ; 0x0
	.long	163840                          ; 0x28000
	.long	0                               ; 0x0
	.long	0                               ; 0x0
	.long	0                               ; 0x0
	.long	327680                          ; 0x50000
	;; [unrolled: 4-line block ×4, first 2 shown]
	.long	0                               ; 0x0
	.long	0                               ; 0x0
	;; [unrolled: 1-line block ×20, first 2 shown]
	.long	18087960                        ; 0x1140018
	.long	0                               ; 0x0
	.long	0                               ; 0x0
	.long	0                               ; 0x0
	.long	36175920                        ; 0x2280030
	.long	0                               ; 0x0
	.long	0                               ; 0x0
	.long	0                               ; 0x0
	;; [unrolled: 4-line block ×3, first 2 shown]
	.long	144703680                       ; 0x8a000c0
	.long	0                               ; 0x0
	.long	0                               ; 0x0
	.long	0                               ; 0x0
	.long	289407361                       ; 0x11400181
	.long	0                               ; 0x0
	.long	0                               ; 0x0
	.long	0                               ; 0x0
	.long	578814722                       ; 0x22800302
	.long	0                               ; 0x0
	.long	0                               ; 0x0
	.long	0                               ; 0x0
	.long	1157629444                      ; 0x45000604
	.long	0                               ; 0x0
	.long	0                               ; 0x0
	;; [unrolled: 1-line block ×3, first 2 shown]
	.long	2315258888                      ; 0x8a000c08
	.long	0                               ; 0x0
	.long	0                               ; 0x0
	;; [unrolled: 1-line block ×3, first 2 shown]
	.long	335550481                       ; 0x14001811
	.long	0                               ; 0x0
	.long	0                               ; 0x0
	;; [unrolled: 1-line block ×3, first 2 shown]
	.long	671100962                       ; 0x28003022
	.long	0                               ; 0x0
	.long	0                               ; 0x0
	.long	0                               ; 0x0
	.long	1342201925                      ; 0x50006045
	.long	0                               ; 0x0
	.long	0                               ; 0x0
	.long	0                               ; 0x0
	.long	2684403851                      ; 0xa000c08b
	;; [unrolled: 4-line block ×4, first 2 shown]
	.long	0                               ; 0x0
	.long	0                               ; 0x0
	;; [unrolled: 1-line block ×3, first 2 shown]
	.long	394332                          ; 0x6045c
	.long	0                               ; 0x0
	.long	0                               ; 0x0
	.long	0                               ; 0x0
	.long	18352288                        ; 0x11808a0
	.long	0                               ; 0x0
	.long	0                               ; 0x0
	.long	0                               ; 0x0
	.long	36704576                        ; 0x2301140
	;; [unrolled: 4-line block ×3, first 2 shown]
	.long	0                               ; 0x0
	.long	0                               ; 0x0
	.long	0                               ; 0x0
	.long	146818304                       ; 0x8c04500
	.long	0                               ; 0x0
	.long	0                               ; 0x0
	.long	0                               ; 0x0
	.long	293636608                       ; 0x11808a00
	;; [unrolled: 4-line block ×3, first 2 shown]
	.long	0                               ; 0x0
	.long	0                               ; 0x0
	;; [unrolled: 1-line block ×3, first 2 shown]
	.long	1174546432                      ; 0x46022800
	.long	0                               ; 0x0
	.long	0                               ; 0x0
	;; [unrolled: 1-line block ×3, first 2 shown]
	.long	2349092864                      ; 0x8c045000
	.long	0                               ; 0x0
	.long	0                               ; 0x0
	;; [unrolled: 1-line block ×3, first 2 shown]
	.long	403218432                       ; 0x1808a000
	.long	0                               ; 0x0
	.long	0                               ; 0x0
	;; [unrolled: 1-line block ×3, first 2 shown]
	.long	806436865                       ; 0x30114001
	.long	0                               ; 0x0
	.long	0                               ; 0x0
	.long	0                               ; 0x0
	.long	1612873731                      ; 0x60228003
	.long	0                               ; 0x0
	.long	0                               ; 0x0
	.long	0                               ; 0x0
	.long	3225747462                      ; 0xc0450006
	;; [unrolled: 4-line block ×3, first 2 shown]
	.long	0                               ; 0x0
	.long	0                               ; 0x0
	;; [unrolled: 1-line block ×32, first 2 shown]
	.long	3548126500                      ; 0xd37c1d24
	.long	0                               ; 0x0
	.long	0                               ; 0x0
	.long	0                               ; 0x0
	.long	2801285704                      ; 0xa6f83a48
	.long	0                               ; 0x0
	.long	0                               ; 0x0
	.long	0                               ; 0x0
	;; [unrolled: 4-line block ×4, first 2 shown]
	.long	935449156                       ; 0x37c1d244
	.long	0                               ; 0x0
	.long	0                               ; 0x0
	.long	0                               ; 0x0
	.long	1870898313                      ; 0x6f83a489
	.long	0                               ; 0x0
	.long	0                               ; 0x0
	.long	0                               ; 0x0
	.long	3741796627                      ; 0xdf074913
	;; [unrolled: 4-line block ×9, first 2 shown]
	.long	0                               ; 0x0
	.long	0                               ; 0x0
	.long	0                               ; 0x0
	.long	122229662                       ; 0x749139e
	.long	0                               ; 0x0
	.long	0                               ; 0x0
	.long	0                               ; 0x0
	.long	244459325                       ; 0xe92273d
	;; [unrolled: 4-line block ×4, first 2 shown]
	.long	0                               ; 0x0
	.long	0                               ; 0x0
	.long	0                               ; 0x0
	.long	1955674600                      ; 0x749139e8
	.long	0                               ; 0x0
	.long	0                               ; 0x0
	.long	0                               ; 0x0
	.long	3911349200                      ; 0xe92273d0
	;; [unrolled: 4-line block ×5, first 2 shown]
	.long	0                               ; 0x0
	.long	0                               ; 0x0
	;; [unrolled: 1-line block ×3, first 2 shown]
	.long	887031625                       ; 0x34df0749
	.long	0                               ; 0x0
	.long	0                               ; 0x0
	;; [unrolled: 1-line block ×3, first 2 shown]
	.long	1774063250                      ; 0x69be0e92
	.long	0                               ; 0x0
	.long	0                               ; 0x0
	;; [unrolled: 1-line block ×4, first 2 shown]
	.long	4160                            ; 0x1040
	.long	0                               ; 0x0
	.long	0                               ; 0x0
	;; [unrolled: 1-line block ×3, first 2 shown]
	.long	8320                            ; 0x2080
	.long	0                               ; 0x0
	.long	0                               ; 0x0
	.long	0                               ; 0x0
	.long	16640                           ; 0x4100
	.long	0                               ; 0x0
	.long	0                               ; 0x0
	.long	0                               ; 0x0
	.long	33280                           ; 0x8200
	;; [unrolled: 4-line block ×3, first 2 shown]
	.long	0                               ; 0x0
	.long	0                               ; 0x0
	.long	0                               ; 0x0
	.long	133120                          ; 0x20800
	.long	0                               ; 0x0
	.long	0                               ; 0x0
	.long	0                               ; 0x0
	.long	266240                          ; 0x41000
	;; [unrolled: 4-line block ×3, first 2 shown]
	.long	0                               ; 0x0
	.long	0                               ; 0x0
	.long	0                               ; 0x0
	.long	1064960                         ; 0x104000
	.long	0                               ; 0x0
	.long	0                               ; 0x0
	.long	0                               ; 0x0
	.long	2129920                         ; 0x208000
	;; [unrolled: 4-line block ×4, first 2 shown]
	.long	0                               ; 0x0
	.long	0                               ; 0x0
	.long	0                               ; 0x0
	.long	17039360                        ; 0x1040000
	.long	0                               ; 0x0
	.long	0                               ; 0x0
	.long	0                               ; 0x0
	.long	34078721                        ; 0x2080001
	;; [unrolled: 4-line block ×3, first 2 shown]
	.long	0                               ; 0x0
	.long	0                               ; 0x0
	.long	0                               ; 0x0
	.long	136314884                       ; 0x8200004
	.long	0                               ; 0x0
	.long	0                               ; 0x0
	.long	0                               ; 0x0
	.long	272629768                       ; 0x10400008
	;; [unrolled: 4-line block ×3, first 2 shown]
	.long	0                               ; 0x0
	.long	0                               ; 0x0
	;; [unrolled: 1-line block ×3, first 2 shown]
	.long	1090519072                      ; 0x41000020
	.long	0                               ; 0x0
	.long	0                               ; 0x0
	;; [unrolled: 1-line block ×3, first 2 shown]
	.long	2181038144                      ; 0x82000040
	.long	0                               ; 0x0
	.long	0                               ; 0x0
	;; [unrolled: 1-line block ×3, first 2 shown]
	.long	67108992                        ; 0x4000080
	.long	0                               ; 0x0
	.long	0                               ; 0x0
	.long	0                               ; 0x0
	.long	134217984                       ; 0x8000100
	.long	0                               ; 0x0
	.long	0                               ; 0x0
	.long	0                               ; 0x0
	.long	268435968                       ; 0x10000200
	;; [unrolled: 4-line block ×3, first 2 shown]
	.long	0                               ; 0x0
	.long	0                               ; 0x0
	;; [unrolled: 1-line block ×3, first 2 shown]
	.long	1073743872                      ; 0x40000800
	.long	0                               ; 0x0
	.long	0                               ; 0x0
	;; [unrolled: 1-line block ×3, first 2 shown]
	.long	2147483713                      ; 0x80000041
	.long	0                               ; 0x0
	.long	0                               ; 0x0
	.long	0                               ; 0x0
	.long	130                             ; 0x82
	.long	0                               ; 0x0
	.long	0                               ; 0x0
	.long	0                               ; 0x0
	.long	260                             ; 0x104
	;; [unrolled: 4-line block ×3, first 2 shown]
	.long	0                               ; 0x0
	.long	0                               ; 0x0
	;; [unrolled: 1-line block ×3, first 2 shown]
	.long	1040                            ; 0x410
	.long	0                               ; 0x0
	.long	0                               ; 0x0
	;; [unrolled: 1-line block ×3, first 2 shown]
	.long	2080                            ; 0x820
	.long	0                               ; 0x0
	.long	0                               ; 0x0
	;; [unrolled: 1-line block ×16, first 2 shown]
	.long	8704                            ; 0x2200
	.long	0                               ; 0x0
	.long	0                               ; 0x0
	.long	0                               ; 0x0
	.long	17408                           ; 0x4400
	.long	0                               ; 0x0
	.long	0                               ; 0x0
	.long	0                               ; 0x0
	.long	34816                           ; 0x8800
	;; [unrolled: 4-line block ×3, first 2 shown]
	.long	0                               ; 0x0
	.long	0                               ; 0x0
	.long	0                               ; 0x0
	.long	139264                          ; 0x22000
	.long	0                               ; 0x0
	.long	0                               ; 0x0
	.long	0                               ; 0x0
	.long	278528                          ; 0x44000
	.long	0                               ; 0x0
	.long	0                               ; 0x0
	.long	0                               ; 0x0
	.long	557056                          ; 0x88000
	.long	0                               ; 0x0
	.long	0                               ; 0x0
	.long	0                               ; 0x0
	.long	1114112                         ; 0x110000
	.long	0                               ; 0x0
	.long	0                               ; 0x0
	.long	0                               ; 0x0
	.long	2228224                         ; 0x220000
	;; [unrolled: 4-line block ×4, first 2 shown]
	.long	0                               ; 0x0
	.long	0                               ; 0x0
	.long	0                               ; 0x0
	.long	17825792                        ; 0x1100000
	.long	0                               ; 0x0
	.long	0                               ; 0x0
	.long	0                               ; 0x0
	.long	35651584                        ; 0x2200000
	;; [unrolled: 4-line block ×3, first 2 shown]
	.long	0                               ; 0x0
	.long	0                               ; 0x0
	.long	0                               ; 0x0
	.long	142606337                       ; 0x8800001
	.long	0                               ; 0x0
	.long	0                               ; 0x0
	.long	0                               ; 0x0
	.long	285212674                       ; 0x11000002
	;; [unrolled: 4-line block ×3, first 2 shown]
	.long	0                               ; 0x0
	.long	0                               ; 0x0
	;; [unrolled: 1-line block ×3, first 2 shown]
	.long	1140850698                      ; 0x4400000a
	.long	0                               ; 0x0
	.long	0                               ; 0x0
	;; [unrolled: 1-line block ×3, first 2 shown]
	.long	2281701397                      ; 0x88000015
	.long	0                               ; 0x0
	.long	0                               ; 0x0
	;; [unrolled: 1-line block ×3, first 2 shown]
	.long	268435498                       ; 0x1000002a
	.long	0                               ; 0x0
	.long	0                               ; 0x0
	;; [unrolled: 1-line block ×3, first 2 shown]
	.long	536870997                       ; 0x20000055
	.long	0                               ; 0x0
	.long	0                               ; 0x0
	;; [unrolled: 1-line block ×3, first 2 shown]
	.long	1073741994                      ; 0x400000aa
	.long	0                               ; 0x0
	.long	0                               ; 0x0
	.long	0                               ; 0x0
	.long	2147483988                      ; 0x80000154
	.long	0                               ; 0x0
	.long	0                               ; 0x0
	;; [unrolled: 1-line block ×3, first 2 shown]
	.long	680                             ; 0x2a8
	.long	0                               ; 0x0
	.long	0                               ; 0x0
	.long	0                               ; 0x0
	.long	1360                            ; 0x550
	.long	0                               ; 0x0
	.long	0                               ; 0x0
	.long	0                               ; 0x0
	.long	2720                            ; 0xaa0
	;; [unrolled: 4-line block ×5, first 2 shown]
	.long	0                               ; 0x0
	.long	0                               ; 0x0
	;; [unrolled: 1-line block ×20, first 2 shown]
	.long	1417720836                      ; 0x5480b404
	.long	0                               ; 0x0
	.long	0                               ; 0x0
	.long	0                               ; 0x0
	.long	2835441672                      ; 0xa9016808
	.long	0                               ; 0x0
	.long	0                               ; 0x0
	.long	0                               ; 0x0
	.long	1375916048                      ; 0x5202d010
	.long	0                               ; 0x0
	.long	0                               ; 0x0
	.long	0                               ; 0x0
	.long	2751832097                      ; 0xa405a021
	.long	0                               ; 0x0
	.long	0                               ; 0x0
	.long	0                               ; 0x0
	.long	1208696898                      ; 0x480b4042
	.long	0                               ; 0x0
	.long	0                               ; 0x0
	.long	0                               ; 0x0
	.long	2417393796                      ; 0x90168084
	.long	0                               ; 0x0
	.long	0                               ; 0x0
	.long	0                               ; 0x0
	.long	539820296                       ; 0x202d0108
	.long	0                               ; 0x0
	.long	0                               ; 0x0
	;; [unrolled: 1-line block ×3, first 2 shown]
	.long	1079640592                      ; 0x405a0210
	.long	0                               ; 0x0
	.long	0                               ; 0x0
	.long	0                               ; 0x0
	.long	2159281184                      ; 0x80b40420
	.long	0                               ; 0x0
	.long	0                               ; 0x0
	.long	0                               ; 0x0
	.long	23595072                        ; 0x1680840
	.long	0                               ; 0x0
	.long	0                               ; 0x0
	.long	0                               ; 0x0
	.long	47190144                        ; 0x2d01080
	;; [unrolled: 4-line block ×3, first 2 shown]
	.long	0                               ; 0x0
	.long	0                               ; 0x0
	.long	0                               ; 0x0
	.long	188760576                       ; 0xb404200
	.long	0                               ; 0x0
	.long	0                               ; 0x0
	.long	0                               ; 0x0
	.long	377521152                       ; 0x16808400
	.long	0                               ; 0x0
	.long	0                               ; 0x0
	.long	0                               ; 0x0
	.long	755042304                       ; 0x2d010800
	.long	0                               ; 0x0
	.long	0                               ; 0x0
	.long	0                               ; 0x0
	.long	243442693                       ; 0xe82a405
	.long	0                               ; 0x0
	.long	0                               ; 0x0
	.long	0                               ; 0x0
	.long	486885387                       ; 0x1d05480b
	.long	0                               ; 0x0
	.long	0                               ; 0x0
	.long	0                               ; 0x0
	.long	973770774                       ; 0x3a0a9016
	.long	0                               ; 0x0
	.long	0                               ; 0x0
	.long	0                               ; 0x0
	.long	1947541549                      ; 0x7415202d
	.long	0                               ; 0x0
	.long	0                               ; 0x0
	.long	0                               ; 0x0
	.long	3895083098                      ; 0xe82a405a
	;; [unrolled: 4-line block ×6, first 2 shown]
	.long	0                               ; 0x0
	.long	0                               ; 0x0
	;; [unrolled: 1-line block ×3, first 2 shown]
	.long	88607552                        ; 0x5480b40
	.long	0                               ; 0x0
	.long	0                               ; 0x0
	.long	0                               ; 0x0
	.long	177215104                       ; 0xa901680
	.long	0                               ; 0x0
	.long	0                               ; 0x0
	.long	0                               ; 0x0
	.long	354430209                       ; 0x15202d01
	;; [unrolled: 4-line block ×3, first 2 shown]
	.long	0                               ; 0x0
	.long	0                               ; 0x0
	;; [unrolled: 1-line block ×32, first 2 shown]
	.long	357270623                       ; 0x154b845f
	.long	0                               ; 0x0
	.long	0                               ; 0x0
	;; [unrolled: 1-line block ×3, first 2 shown]
	.long	714541247                       ; 0x2a9708bf
	.long	0                               ; 0x0
	.long	0                               ; 0x0
	.long	0                               ; 0x0
	.long	1429082494                      ; 0x552e117e
	.long	0                               ; 0x0
	.long	0                               ; 0x0
	.long	0                               ; 0x0
	.long	2858164988                      ; 0xaa5c22fc
	;; [unrolled: 4-line block ×8, first 2 shown]
	.long	0                               ; 0x0
	.long	0                               ; 0x0
	;; [unrolled: 1-line block ×3, first 2 shown]
	.long	772898351                       ; 0x2e117e2f
	.long	0                               ; 0x0
	.long	0                               ; 0x0
	.long	0                               ; 0x0
	.long	1545796702                      ; 0x5c22fc5e
	.long	0                               ; 0x0
	.long	0                               ; 0x0
	.long	0                               ; 0x0
	.long	3091593405                      ; 0xb845f8bd
	;; [unrolled: 4-line block ×6, first 2 shown]
	.long	0                               ; 0x0
	.long	0                               ; 0x0
	.long	0                               ; 0x0
	.long	146741158                       ; 0x8bf17a6
	.long	0                               ; 0x0
	.long	0                               ; 0x0
	.long	0                               ; 0x0
	.long	293482317                       ; 0x117e2f4d
	;; [unrolled: 4-line block ×3, first 2 shown]
	.long	0                               ; 0x0
	.long	0                               ; 0x0
	;; [unrolled: 1-line block ×3, first 2 shown]
	.long	1173929269                      ; 0x45f8bd35
	.long	0                               ; 0x0
	.long	0                               ; 0x0
	;; [unrolled: 1-line block ×3, first 2 shown]
	.long	2347858538                      ; 0x8bf17a6a
	.long	0                               ; 0x0
	.long	0                               ; 0x0
	;; [unrolled: 1-line block ×3, first 2 shown]
	.long	44658827                        ; 0x2a9708b
	.long	0                               ; 0x0
	.long	0                               ; 0x0
	.long	0                               ; 0x0
	.long	89317655                        ; 0x552e117
	.long	0                               ; 0x0
	.long	0                               ; 0x0
	;; [unrolled: 1-line block ×3, first 2 shown]
	.long	178635311                       ; 0xaa5c22f
	.long	0                               ; 0x0
	.long	0                               ; 0x0
	;; [unrolled: 1-line block ×4, first 2 shown]
	.long	3162112                         ; 0x304000
	.long	0                               ; 0x0
	.long	0                               ; 0x0
	;; [unrolled: 1-line block ×3, first 2 shown]
	.long	6324224                         ; 0x608000
	.long	0                               ; 0x0
	.long	0                               ; 0x0
	.long	0                               ; 0x0
	.long	12648448                        ; 0xc10000
	.long	0                               ; 0x0
	.long	0                               ; 0x0
	.long	0                               ; 0x0
	.long	25296896                        ; 0x1820000
	;; [unrolled: 4-line block ×3, first 2 shown]
	.long	0                               ; 0x0
	.long	0                               ; 0x0
	.long	0                               ; 0x0
	.long	101187587                       ; 0x6080003
	.long	0                               ; 0x0
	.long	0                               ; 0x0
	.long	0                               ; 0x0
	.long	202375174                       ; 0xc100006
	;; [unrolled: 4-line block ×4, first 2 shown]
	.long	0                               ; 0x0
	.long	0                               ; 0x0
	.long	0                               ; 0x0
	.long	1619001392                      ; 0x60800030
	.long	0                               ; 0x0
	.long	0                               ; 0x0
	.long	0                               ; 0x0
	.long	3238002785                      ; 0xc1000061
	;; [unrolled: 4-line block ×3, first 2 shown]
	.long	0                               ; 0x0
	.long	0                               ; 0x0
	;; [unrolled: 1-line block ×3, first 2 shown]
	.long	67109252                        ; 0x4000184
	.long	0                               ; 0x0
	.long	0                               ; 0x0
	.long	0                               ; 0x0
	.long	134218504                       ; 0x8000308
	.long	0                               ; 0x0
	.long	0                               ; 0x0
	.long	0                               ; 0x0
	.long	268437008                       ; 0x10000610
	;; [unrolled: 4-line block ×3, first 2 shown]
	.long	0                               ; 0x0
	.long	0                               ; 0x0
	;; [unrolled: 1-line block ×3, first 2 shown]
	.long	1073748032                      ; 0x40001840
	.long	0                               ; 0x0
	.long	0                               ; 0x0
	;; [unrolled: 1-line block ×3, first 2 shown]
	.long	2147496065                      ; 0x80003081
	.long	0                               ; 0x0
	.long	0                               ; 0x0
	.long	0                               ; 0x0
	.long	24834                           ; 0x6102
	.long	0                               ; 0x0
	.long	0                               ; 0x0
	.long	0                               ; 0x0
	.long	49668                           ; 0xc204
	.long	0                               ; 0x0
	.long	0                               ; 0x0
	.long	0                               ; 0x0
	.long	99336                           ; 0x18408
	.long	0                               ; 0x0
	.long	0                               ; 0x0
	.long	0                               ; 0x0
	.long	198672                          ; 0x30810
	.long	0                               ; 0x0
	.long	0                               ; 0x0
	.long	0                               ; 0x0
	.long	397344                          ; 0x61020
	;; [unrolled: 4-line block ×3, first 2 shown]
	.long	0                               ; 0x0
	.long	0                               ; 0x0
	;; [unrolled: 1-line block ×3, first 2 shown]
	.long	1589376                         ; 0x184080
	.long	0                               ; 0x0
	.long	0                               ; 0x0
	;; [unrolled: 1-line block ×3, first 2 shown]
	.long	49408                           ; 0xc100
	.long	0                               ; 0x0
	.long	0                               ; 0x0
	;; [unrolled: 1-line block ×3, first 2 shown]
	.long	98816                           ; 0x18200
	.long	0                               ; 0x0
	.long	0                               ; 0x0
	.long	0                               ; 0x0
	.long	197632                          ; 0x30400
	.long	0                               ; 0x0
	.long	0                               ; 0x0
	.long	0                               ; 0x0
	.long	395264                          ; 0x60800
	;; [unrolled: 4-line block ×3, first 2 shown]
	.long	0                               ; 0x0
	.long	0                               ; 0x0
	;; [unrolled: 1-line block ×3, first 2 shown]
	.long	1581056                         ; 0x182000
	.long	0                               ; 0x0
	.long	0                               ; 0x0
	;; [unrolled: 1-line block ×16, first 2 shown]
	.long	134299649                       ; 0x8014001
	.long	0                               ; 0x0
	.long	0                               ; 0x0
	.long	0                               ; 0x0
	.long	268599298                       ; 0x10028002
	.long	0                               ; 0x0
	.long	0                               ; 0x0
	.long	0                               ; 0x0
	;; [unrolled: 4-line block ×3, first 2 shown]
	.long	1074397194                      ; 0x400a000a
	.long	0                               ; 0x0
	.long	0                               ; 0x0
	;; [unrolled: 1-line block ×3, first 2 shown]
	.long	2148794388                      ; 0x80140014
	.long	0                               ; 0x0
	.long	0                               ; 0x0
	;; [unrolled: 1-line block ×3, first 2 shown]
	.long	2621480                         ; 0x280028
	.long	0                               ; 0x0
	.long	0                               ; 0x0
	;; [unrolled: 1-line block ×3, first 2 shown]
	.long	5242960                         ; 0x500050
	.long	0                               ; 0x0
	.long	0                               ; 0x0
	.long	0                               ; 0x0
	.long	10485920                        ; 0xa000a0
	.long	0                               ; 0x0
	.long	0                               ; 0x0
	.long	0                               ; 0x0
	.long	20971840                        ; 0x1400140
	;; [unrolled: 4-line block ×4, first 2 shown]
	.long	0                               ; 0x0
	.long	0                               ; 0x0
	.long	0                               ; 0x0
	.long	167774721                       ; 0xa000a01
	.long	0                               ; 0x0
	.long	0                               ; 0x0
	.long	0                               ; 0x0
	.long	335549442                       ; 0x14001402
	;; [unrolled: 4-line block ×3, first 2 shown]
	.long	0                               ; 0x0
	.long	0                               ; 0x0
	.long	0                               ; 0x0
	.long	1342197768                      ; 0x50005008
	.long	0                               ; 0x0
	.long	0                               ; 0x0
	.long	0                               ; 0x0
	.long	2684395537                      ; 0xa000a011
	;; [unrolled: 4-line block ×4, first 2 shown]
	.long	0                               ; 0x0
	.long	0                               ; 0x0
	;; [unrolled: 1-line block ×3, first 2 shown]
	.long	327816                          ; 0x50088
	.long	0                               ; 0x0
	.long	0                               ; 0x0
	;; [unrolled: 1-line block ×3, first 2 shown]
	.long	655632                          ; 0xa0110
	.long	0                               ; 0x0
	.long	0                               ; 0x0
	.long	0                               ; 0x0
	.long	1311264                         ; 0x140220
	.long	0                               ; 0x0
	.long	0                               ; 0x0
	.long	0                               ; 0x0
	.long	2622528                         ; 0x280440
	;; [unrolled: 4-line block ×3, first 2 shown]
	.long	0                               ; 0x0
	.long	0                               ; 0x0
	.long	0                               ; 0x0
	.long	10490112                        ; 0xa01100
	.long	0                               ; 0x0
	.long	0                               ; 0x0
	.long	0                               ; 0x0
	.long	20980224                        ; 0x1402200
	;; [unrolled: 4-line block ×6, first 2 shown]
	.long	0                               ; 0x0
	.long	0                               ; 0x0
	;; [unrolled: 1-line block ×20, first 2 shown]
	.long	844445257                       ; 0x32553649
	.long	0                               ; 0x0
	.long	0                               ; 0x0
	.long	0                               ; 0x0
	.long	1688890514                      ; 0x64aa6c92
	.long	0                               ; 0x0
	.long	0                               ; 0x0
	.long	0                               ; 0x0
	.long	3377781029                      ; 0xc954d925
	;; [unrolled: 4-line block ×3, first 2 shown]
	.long	0                               ; 0x0
	.long	0                               ; 0x0
	;; [unrolled: 1-line block ×3, first 2 shown]
	.long	626222228                       ; 0x25536494
	.long	0                               ; 0x0
	.long	0                               ; 0x0
	;; [unrolled: 1-line block ×3, first 2 shown]
	.long	1252444457                      ; 0x4aa6c929
	.long	0                               ; 0x0
	.long	0                               ; 0x0
	;; [unrolled: 1-line block ×3, first 2 shown]
	.long	2504888914                      ; 0x954d9252
	.long	0                               ; 0x0
	.long	0                               ; 0x0
	;; [unrolled: 1-line block ×3, first 2 shown]
	.long	714810532                       ; 0x2a9b24a4
	.long	0                               ; 0x0
	.long	0                               ; 0x0
	.long	0                               ; 0x0
	.long	1429621065                      ; 0x55364949
	.long	0                               ; 0x0
	.long	0                               ; 0x0
	.long	0                               ; 0x0
	.long	2859242131                      ; 0xaa6c9293
	;; [unrolled: 4-line block ×12, first 2 shown]
	.long	0                               ; 0x0
	.long	0                               ; 0x0
	;; [unrolled: 1-line block ×3, first 2 shown]
	.long	775050550                       ; 0x2e325536
	.long	0                               ; 0x0
	.long	0                               ; 0x0
	.long	0                               ; 0x0
	.long	1550101100                      ; 0x5c64aa6c
	.long	0                               ; 0x0
	.long	0                               ; 0x0
	.long	0                               ; 0x0
	.long	3100202201                      ; 0xb8c954d9
	.long	0                               ; 0x0
	.long	0                               ; 0x0
	.long	0                               ; 0x0
	.long	1905437106                      ; 0x7192a9b2
	.long	0                               ; 0x0
	.long	0                               ; 0x0
	.long	0                               ; 0x0
	.long	3810874212                      ; 0xe3255364
	.long	0                               ; 0x0
	.long	0                               ; 0x0
	.long	0                               ; 0x0
	.long	3326781129                      ; 0xc64aa6c9
	.long	0                               ; 0x0
	.long	0                               ; 0x0
	.long	0                               ; 0x0
	.long	2358594962                      ; 0x8c954d92
	.long	0                               ; 0x0
	.long	0                               ; 0x0
	.long	0                               ; 0x0
	.long	422222628                       ; 0x192a9b24
	.long	0                               ; 0x0
	.long	0                               ; 0x0
	;; [unrolled: 1-line block ×32, first 2 shown]
	.long	3265725291                      ; 0xc2a7036b
	.long	0                               ; 0x0
	.long	0                               ; 0x0
	;; [unrolled: 1-line block ×3, first 2 shown]
	.long	2236483287                      ; 0x854e06d7
	.long	0                               ; 0x0
	.long	0                               ; 0x0
	.long	0                               ; 0x0
	.long	177999279                       ; 0xa9c0daf
	.long	0                               ; 0x0
	.long	0                               ; 0x0
	.long	0                               ; 0x0
	.long	355998558                       ; 0x15381b5e
	;; [unrolled: 4-line block ×3, first 2 shown]
	.long	0                               ; 0x0
	.long	0                               ; 0x0
	.long	0                               ; 0x0
	.long	1423994233                      ; 0x54e06d79
	.long	0                               ; 0x0
	.long	0                               ; 0x0
	.long	0                               ; 0x0
	.long	2847988467                      ; 0xa9c0daf3
	;; [unrolled: 4-line block ×6, first 2 shown]
	.long	0                               ; 0x0
	.long	0                               ; 0x0
	;; [unrolled: 1-line block ×3, first 2 shown]
	.long	941317756                       ; 0x381b5e7c
	.long	0                               ; 0x0
	.long	0                               ; 0x0
	.long	0                               ; 0x0
	.long	1882635512                      ; 0x7036bcf8
	.long	0                               ; 0x0
	.long	0                               ; 0x0
	.long	0                               ; 0x0
	.long	3765271025                      ; 0xe06d79f1
	;; [unrolled: 4-line block ×4, first 2 shown]
	.long	0                               ; 0x0
	.long	0                               ; 0x0
	;; [unrolled: 1-line block ×3, first 2 shown]
	.long	57397132                        ; 0x36bcf8c
	.long	0                               ; 0x0
	.long	0                               ; 0x0
	.long	0                               ; 0x0
	.long	114794264                       ; 0x6d79f18
	.long	0                               ; 0x0
	.long	0                               ; 0x0
	.long	0                               ; 0x0
	.long	229588528                       ; 0xdaf3e30
	;; [unrolled: 4-line block ×4, first 2 shown]
	.long	0                               ; 0x0
	.long	0                               ; 0x0
	;; [unrolled: 1-line block ×3, first 2 shown]
	.long	1836708227                      ; 0x6d79f183
	.long	0                               ; 0x0
	.long	0                               ; 0x0
	;; [unrolled: 1-line block ×3, first 2 shown]
	.long	408215661                       ; 0x1854e06d
	.long	0                               ; 0x0
	.long	0                               ; 0x0
	.long	0                               ; 0x0
	.long	816431322                       ; 0x30a9c0da
	.long	0                               ; 0x0
	.long	0                               ; 0x0
	;; [unrolled: 1-line block ×3, first 2 shown]
	.long	1632862645                      ; 0x615381b5
	.long	0                               ; 0x0
	.long	0                               ; 0x0
	;; [unrolled: 1-line block ×4, first 2 shown]
	.long	2554888269                      ; 0x9848804d
	.long	0                               ; 0x0
	.long	0                               ; 0x0
	;; [unrolled: 1-line block ×3, first 2 shown]
	.long	814809242                       ; 0x3091009a
	.long	0                               ; 0x0
	.long	0                               ; 0x0
	.long	0                               ; 0x0
	.long	1629618484                      ; 0x61220134
	.long	0                               ; 0x0
	.long	0                               ; 0x0
	.long	0                               ; 0x0
	.long	3259236968                      ; 0xc2440268
	;; [unrolled: 4-line block ×3, first 2 shown]
	.long	0                               ; 0x0
	.long	0                               ; 0x0
	.long	0                               ; 0x0
	.long	152045986                       ; 0x91009a2
	.long	0                               ; 0x0
	.long	0                               ; 0x0
	.long	0                               ; 0x0
	.long	304091973                       ; 0x12201345
	;; [unrolled: 4-line block ×3, first 2 shown]
	.long	0                               ; 0x0
	.long	0                               ; 0x0
	;; [unrolled: 1-line block ×3, first 2 shown]
	.long	1216367892                      ; 0x48804d14
	.long	0                               ; 0x0
	.long	0                               ; 0x0
	;; [unrolled: 1-line block ×3, first 2 shown]
	.long	2432735785                      ; 0x91009a29
	.long	0                               ; 0x0
	.long	0                               ; 0x0
	;; [unrolled: 1-line block ×3, first 2 shown]
	.long	570504275                       ; 0x22013453
	.long	0                               ; 0x0
	.long	0                               ; 0x0
	;; [unrolled: 1-line block ×3, first 2 shown]
	.long	1141008550                      ; 0x440268a6
	.long	0                               ; 0x0
	.long	0                               ; 0x0
	;; [unrolled: 1-line block ×3, first 2 shown]
	.long	2282017101                      ; 0x8804d14d
	.long	0                               ; 0x0
	.long	0                               ; 0x0
	;; [unrolled: 1-line block ×3, first 2 shown]
	.long	269066906                       ; 0x1009a29a
	.long	0                               ; 0x0
	.long	0                               ; 0x0
	.long	0                               ; 0x0
	.long	538133812                       ; 0x20134534
	.long	0                               ; 0x0
	.long	0                               ; 0x0
	;; [unrolled: 1-line block ×3, first 2 shown]
	.long	1076267624                      ; 0x40268a68
	.long	0                               ; 0x0
	.long	0                               ; 0x0
	;; [unrolled: 1-line block ×3, first 2 shown]
	.long	2152535249                      ; 0x804d14d1
	.long	0                               ; 0x0
	.long	0                               ; 0x0
	.long	0                               ; 0x0
	.long	10103202                        ; 0x9a29a2
	.long	0                               ; 0x0
	.long	0                               ; 0x0
	.long	0                               ; 0x0
	.long	20206404                        ; 0x1345344
	;; [unrolled: 4-line block ×4, first 2 shown]
	.long	0                               ; 0x0
	.long	0                               ; 0x0
	.long	0                               ; 0x0
	.long	161651236                       ; 0x9a29a24
	.long	0                               ; 0x0
	.long	0                               ; 0x0
	.long	0                               ; 0x0
	.long	323302473                       ; 0x13453449
	;; [unrolled: 4-line block ×3, first 2 shown]
	.long	0                               ; 0x0
	.long	0                               ; 0x0
	;; [unrolled: 1-line block ×3, first 2 shown]
	.long	1293209894                      ; 0x4d14d126
	.long	0                               ; 0x0
	.long	0                               ; 0x0
	.long	0                               ; 0x0
	.long	39920129                        ; 0x2612201
	.long	0                               ; 0x0
	.long	0                               ; 0x0
	.long	0                               ; 0x0
	.long	79840258                        ; 0x4c24402
	.long	0                               ; 0x0
	.long	0                               ; 0x0
	.long	0                               ; 0x0
	.long	159680516                       ; 0x9848804
	.long	0                               ; 0x0
	.long	0                               ; 0x0
	.long	0                               ; 0x0
	.long	319361033                       ; 0x13091009
	;; [unrolled: 4-line block ×3, first 2 shown]
	.long	0                               ; 0x0
	.long	0                               ; 0x0
	;; [unrolled: 1-line block ×3, first 2 shown]
	.long	1277444134                      ; 0x4c244026
	.long	0                               ; 0x0
	.long	0                               ; 0x0
	;; [unrolled: 1-line block ×16, first 2 shown]
	.long	336678914                       ; 0x14115002
	.long	0                               ; 0x0
	.long	0                               ; 0x0
	.long	0                               ; 0x0
	.long	673357828                       ; 0x2822a004
	.long	0                               ; 0x0
	.long	0                               ; 0x0
	.long	0                               ; 0x0
	.long	1346715656                      ; 0x50454008
	.long	0                               ; 0x0
	.long	0                               ; 0x0
	.long	0                               ; 0x0
	.long	2693431313                      ; 0xa08a8011
	.long	0                               ; 0x0
	.long	0                               ; 0x0
	.long	0                               ; 0x0
	.long	1091895330                      ; 0x41150022
	.long	0                               ; 0x0
	.long	0                               ; 0x0
	.long	0                               ; 0x0
	.long	2183790660                      ; 0x822a0044
	.long	0                               ; 0x0
	.long	0                               ; 0x0
	;; [unrolled: 1-line block ×3, first 2 shown]
	.long	72614024                        ; 0x4540088
	.long	0                               ; 0x0
	.long	0                               ; 0x0
	.long	0                               ; 0x0
	.long	145228049                       ; 0x8a80111
	.long	0                               ; 0x0
	.long	0                               ; 0x0
	.long	0                               ; 0x0
	.long	290456098                       ; 0x11500222
	;; [unrolled: 4-line block ×3, first 2 shown]
	.long	0                               ; 0x0
	.long	0                               ; 0x0
	.long	0                               ; 0x0
	.long	1161824394                      ; 0x4540088a
	.long	0                               ; 0x0
	.long	0                               ; 0x0
	.long	0                               ; 0x0
	.long	2323648789                      ; 0x8a801115
	.long	0                               ; 0x0
	.long	0                               ; 0x0
	;; [unrolled: 1-line block ×3, first 2 shown]
	.long	352330282                       ; 0x1500222a
	.long	0                               ; 0x0
	.long	0                               ; 0x0
	;; [unrolled: 1-line block ×3, first 2 shown]
	.long	704660564                       ; 0x2a004454
	.long	0                               ; 0x0
	.long	0                               ; 0x0
	.long	0                               ; 0x0
	.long	1409321128                      ; 0x540088a8
	.long	0                               ; 0x0
	.long	0                               ; 0x0
	.long	0                               ; 0x0
	.long	2818642256                      ; 0xa8011150
	;; [unrolled: 4-line block ×6, first 2 shown]
	.long	0                               ; 0x0
	.long	0                               ; 0x0
	.long	0                               ; 0x0
	.long	2238984                         ; 0x222a08
	.long	0                               ; 0x0
	.long	0                               ; 0x0
	.long	0                               ; 0x0
	.long	4477968                         ; 0x445410
	;; [unrolled: 4-line block ×3, first 2 shown]
	.long	0                               ; 0x0
	.long	0                               ; 0x0
	.long	0                               ; 0x0
	.long	17911872                        ; 0x1115040
	.long	0                               ; 0x0
	.long	0                               ; 0x0
	.long	0                               ; 0x0
	.long	35823744                        ; 0x222a080
	;; [unrolled: 4-line block ×3, first 2 shown]
	.long	0                               ; 0x0
	.long	0                               ; 0x0
	;; [unrolled: 1-line block ×3, first 2 shown]
	.long	143294977                       ; 0x88a8201
	.long	0                               ; 0x0
	.long	0                               ; 0x0
	;; [unrolled: 1-line block ×3, first 2 shown]
	.long	84169728                        ; 0x5045400
	.long	0                               ; 0x0
	.long	0                               ; 0x0
	;; [unrolled: 1-line block ×3, first 2 shown]
	.long	168339457                       ; 0xa08a801
	.long	0                               ; 0x0
	.long	0                               ; 0x0
	;; [unrolled: 1-line block ×20, first 2 shown]
	.long	3001529316                      ; 0xb2e7b3e4
	.long	0                               ; 0x0
	.long	0                               ; 0x0
	.long	0                               ; 0x0
	.long	1708091336                      ; 0x65cf67c8
	.long	0                               ; 0x0
	.long	0                               ; 0x0
	.long	0                               ; 0x0
	;; [unrolled: 4-line block ×4, first 2 shown]
	.long	779828804                       ; 0x2e7b3e44
	.long	0                               ; 0x0
	.long	0                               ; 0x0
	.long	0                               ; 0x0
	.long	1559657609                      ; 0x5cf67c89
	.long	0                               ; 0x0
	.long	0                               ; 0x0
	.long	0                               ; 0x0
	.long	3119315218                      ; 0xb9ecf912
	;; [unrolled: 4-line block ×18, first 2 shown]
	.long	0                               ; 0x0
	.long	0                               ; 0x0
	;; [unrolled: 1-line block ×3, first 2 shown]
	.long	362233247                       ; 0x15973d9f
	.long	0                               ; 0x0
	.long	0                               ; 0x0
	.long	0                               ; 0x0
	.long	724466494                       ; 0x2b2e7b3e
	.long	0                               ; 0x0
	.long	0                               ; 0x0
	.long	0                               ; 0x0
	.long	1448932988                      ; 0x565cf67c
	.long	0                               ; 0x0
	.long	0                               ; 0x0
	.long	0                               ; 0x0
	.long	2897865977                      ; 0xacb9ecf9
	;; [unrolled: 4-line block ×3, first 2 shown]
	.long	0                               ; 0x0
	.long	0                               ; 0x0
	;; [unrolled: 1-line block ×32, first 2 shown]
	.long	3612118070                      ; 0xd74c8c36
	.long	0                               ; 0x0
	.long	0                               ; 0x0
	.long	0                               ; 0x0
	.long	2929268845                      ; 0xae99186d
	.long	0                               ; 0x0
	.long	0                               ; 0x0
	.long	0                               ; 0x0
	.long	1563570394                      ; 0x5d3230da
	.long	0                               ; 0x0
	.long	0                               ; 0x0
	.long	0                               ; 0x0
	.long	3127140788                      ; 0xba6461b4
	.long	0                               ; 0x0
	.long	0                               ; 0x0
	.long	0                               ; 0x0
	.long	1959314281                      ; 0x74c8c369
	.long	0                               ; 0x0
	.long	0                               ; 0x0
	.long	0                               ; 0x0
	.long	3918628562                      ; 0xe99186d2
	.long	0                               ; 0x0
	.long	0                               ; 0x0
	.long	0                               ; 0x0
	.long	3542289829                      ; 0xd3230da5
	.long	0                               ; 0x0
	.long	0                               ; 0x0
	.long	0                               ; 0x0
	.long	2789612362                      ; 0xa6461b4a
	.long	0                               ; 0x0
	.long	0                               ; 0x0
	.long	0                               ; 0x0
	.long	1284257428                      ; 0x4c8c3694
	.long	0                               ; 0x0
	.long	0                               ; 0x0
	.long	0                               ; 0x0
	.long	2568514856                      ; 0x99186d28
	.long	0                               ; 0x0
	.long	0                               ; 0x0
	.long	0                               ; 0x0
	.long	842062417                       ; 0x3230da51
	.long	0                               ; 0x0
	.long	0                               ; 0x0
	.long	0                               ; 0x0
	.long	1684124835                      ; 0x6461b4a3
	.long	0                               ; 0x0
	.long	0                               ; 0x0
	.long	0                               ; 0x0
	.long	3368249671                      ; 0xc8c36947
	;; [unrolled: 4-line block ×3, first 2 shown]
	.long	0                               ; 0x0
	.long	0                               ; 0x0
	;; [unrolled: 1-line block ×3, first 2 shown]
	.long	588096797                       ; 0x230da51d
	.long	0                               ; 0x0
	.long	0                               ; 0x0
	;; [unrolled: 1-line block ×3, first 2 shown]
	.long	1176193595                      ; 0x461b4a3b
	.long	0                               ; 0x0
	.long	0                               ; 0x0
	;; [unrolled: 1-line block ×3, first 2 shown]
	.long	2352387190                      ; 0x8c369476
	.long	0                               ; 0x0
	.long	0                               ; 0x0
	.long	0                               ; 0x0
	.long	409807085                       ; 0x186d28ed
	.long	0                               ; 0x0
	.long	0                               ; 0x0
	;; [unrolled: 1-line block ×3, first 2 shown]
	.long	819614171                       ; 0x30da51db
	.long	0                               ; 0x0
	.long	0                               ; 0x0
	.long	0                               ; 0x0
	.long	1639228342                      ; 0x61b4a3b6
	.long	0                               ; 0x0
	.long	0                               ; 0x0
	.long	0                               ; 0x0
	.long	3278456684                      ; 0xc369476c
	;; [unrolled: 4-line block ×6, first 2 shown]
	.long	0                               ; 0x0
	.long	0                               ; 0x0
	;; [unrolled: 1-line block ×4, first 2 shown]
	.long	1164254896                      ; 0x45651eb0
	.long	0                               ; 0x0
	.long	0                               ; 0x0
	;; [unrolled: 1-line block ×3, first 2 shown]
	.long	2328509792                      ; 0x8aca3d60
	.long	0                               ; 0x0
	.long	0                               ; 0x0
	;; [unrolled: 1-line block ×3, first 2 shown]
	.long	362052288                       ; 0x15947ac0
	.long	0                               ; 0x0
	.long	0                               ; 0x0
	;; [unrolled: 1-line block ×3, first 2 shown]
	.long	724104577                       ; 0x2b28f581
	.long	0                               ; 0x0
	.long	0                               ; 0x0
	.long	0                               ; 0x0
	.long	1448209155                      ; 0x5651eb03
	.long	0                               ; 0x0
	.long	0                               ; 0x0
	.long	0                               ; 0x0
	.long	2896418311                      ; 0xaca3d607
	.long	0                               ; 0x0
	.long	0                               ; 0x0
	.long	0                               ; 0x0
	.long	1497869326                      ; 0x5947ac0e
	.long	0                               ; 0x0
	.long	0                               ; 0x0
	.long	0                               ; 0x0
	.long	2995738652                      ; 0xb28f581c
	.long	0                               ; 0x0
	.long	0                               ; 0x0
	.long	0                               ; 0x0
	.long	1696510008                      ; 0x651eb038
	.long	0                               ; 0x0
	.long	0                               ; 0x0
	.long	0                               ; 0x0
	.long	3393020016                      ; 0xca3d6070
	.long	0                               ; 0x0
	.long	0                               ; 0x0
	.long	0                               ; 0x0
	.long	2491072737                      ; 0x947ac0e1
	.long	0                               ; 0x0
	.long	0                               ; 0x0
	;; [unrolled: 1-line block ×3, first 2 shown]
	.long	687178178                       ; 0x28f581c2
	.long	0                               ; 0x0
	.long	0                               ; 0x0
	.long	0                               ; 0x0
	.long	1374356356                      ; 0x51eb0384
	.long	0                               ; 0x0
	.long	0                               ; 0x0
	.long	0                               ; 0x0
	.long	2748712712                      ; 0xa3d60708
	;; [unrolled: 4-line block ×4, first 2 shown]
	.long	0                               ; 0x0
	.long	0                               ; 0x0
	;; [unrolled: 1-line block ×3, first 2 shown]
	.long	514865221                       ; 0x1eb03845
	.long	0                               ; 0x0
	.long	0                               ; 0x0
	.long	0                               ; 0x0
	.long	1029730442                      ; 0x3d60708a
	.long	0                               ; 0x0
	.long	0                               ; 0x0
	.long	0                               ; 0x0
	.long	2059460885                      ; 0x7ac0e115
	;; [unrolled: 4-line block ×8, first 2 shown]
	.long	0                               ; 0x0
	.long	0                               ; 0x0
	;; [unrolled: 1-line block ×3, first 2 shown]
	.long	622171258                       ; 0x2515947a
	.long	0                               ; 0x0
	.long	0                               ; 0x0
	;; [unrolled: 1-line block ×3, first 2 shown]
	.long	1244342517                      ; 0x4a2b28f5
	.long	0                               ; 0x0
	.long	0                               ; 0x0
	;; [unrolled: 1-line block ×3, first 2 shown]
	.long	2488685035                      ; 0x945651eb
	.long	0                               ; 0x0
	.long	0                               ; 0x0
	;; [unrolled: 1-line block ×3, first 2 shown]
	.long	682402774                       ; 0x28aca3d6
	.long	0                               ; 0x0
	.long	0                               ; 0x0
	.long	0                               ; 0x0
	.long	1364805548                      ; 0x515947ac
	.long	0                               ; 0x0
	.long	0                               ; 0x0
	;; [unrolled: 1-line block ×3, first 2 shown]
	.long	2729611096                      ; 0xa2b28f58
	.long	0                               ; 0x0
	.long	0                               ; 0x0
	;; [unrolled: 1-line block ×16, first 2 shown]
	.long	339960066                       ; 0x14436102
	.long	0                               ; 0x0
	.long	0                               ; 0x0
	;; [unrolled: 1-line block ×3, first 2 shown]
	.long	679920132                       ; 0x2886c204
	.long	0                               ; 0x0
	.long	0                               ; 0x0
	.long	0                               ; 0x0
	.long	1359840264                      ; 0x510d8408
	.long	0                               ; 0x0
	.long	0                               ; 0x0
	.long	0                               ; 0x0
	.long	2719680529                      ; 0xa21b0811
	;; [unrolled: 4-line block ×4, first 2 shown]
	.long	0                               ; 0x0
	.long	0                               ; 0x0
	;; [unrolled: 1-line block ×3, first 2 shown]
	.long	282607754                       ; 0x10d8408a
	.long	0                               ; 0x0
	.long	0                               ; 0x0
	;; [unrolled: 1-line block ×3, first 2 shown]
	.long	565215509                       ; 0x21b08115
	.long	0                               ; 0x0
	.long	0                               ; 0x0
	;; [unrolled: 1-line block ×3, first 2 shown]
	.long	1130431018                      ; 0x4361022a
	.long	0                               ; 0x0
	.long	0                               ; 0x0
	;; [unrolled: 1-line block ×3, first 2 shown]
	.long	2260862036                      ; 0x86c20454
	.long	0                               ; 0x0
	.long	0                               ; 0x0
	.long	0                               ; 0x0
	.long	226756777                       ; 0xd8408a9
	.long	0                               ; 0x0
	.long	0                               ; 0x0
	.long	0                               ; 0x0
	.long	453513555                       ; 0x1b081153
	;; [unrolled: 4-line block ×3, first 2 shown]
	.long	0                               ; 0x0
	.long	0                               ; 0x0
	.long	0                               ; 0x0
	.long	1814054222                      ; 0x6c20454e
	.long	0                               ; 0x0
	.long	0                               ; 0x0
	.long	0                               ; 0x0
	.long	3628108445                      ; 0xd8408a9d
	;; [unrolled: 4-line block ×6, first 2 shown]
	.long	0                               ; 0x0
	.long	0                               ; 0x0
	.long	0                               ; 0x0
	.long	135353273                       ; 0x81153b9
	.long	0                               ; 0x0
	.long	0                               ; 0x0
	.long	0                               ; 0x0
	.long	270706546                       ; 0x1022a772
	;; [unrolled: 4-line block ×3, first 2 shown]
	.long	0                               ; 0x0
	.long	0                               ; 0x0
	;; [unrolled: 1-line block ×3, first 2 shown]
	.long	1082826186                      ; 0x408a9dca
	.long	0                               ; 0x0
	.long	0                               ; 0x0
	.long	0                               ; 0x0
	.long	2165652372                      ; 0x81153b94
	.long	0                               ; 0x0
	.long	0                               ; 0x0
	.long	0                               ; 0x0
	.long	36337448                        ; 0x22a7728
	.long	0                               ; 0x0
	.long	0                               ; 0x0
	;; [unrolled: 1-line block ×3, first 2 shown]
	.long	72674896                        ; 0x454ee50
	.long	0                               ; 0x0
	.long	0                               ; 0x0
	;; [unrolled: 1-line block ×3, first 2 shown]
	.long	145349793                       ; 0x8a9dca1
	.long	0                               ; 0x0
	.long	0                               ; 0x0
	;; [unrolled: 1-line block ×3, first 2 shown]
	.long	84990016                        ; 0x510d840
	.long	0                               ; 0x0
	.long	0                               ; 0x0
	;; [unrolled: 1-line block ×3, first 2 shown]
	.long	169980033                       ; 0xa21b081
	.long	0                               ; 0x0
	.long	0                               ; 0x0
	;; [unrolled: 1-line block ×20, first 2 shown]
	.long	2938358989                      ; 0xaf23cccd
	.long	0                               ; 0x0
	.long	0                               ; 0x0
	.long	0                               ; 0x0
	.long	1581750682                      ; 0x5e47999a
	.long	0                               ; 0x0
	.long	0                               ; 0x0
	.long	0                               ; 0x0
	;; [unrolled: 4-line block ×8, first 2 shown]
	.long	600624491                       ; 0x23cccd6b
	.long	0                               ; 0x0
	.long	0                               ; 0x0
	;; [unrolled: 1-line block ×3, first 2 shown]
	.long	1201248983                      ; 0x47999ad7
	.long	0                               ; 0x0
	.long	0                               ; 0x0
	;; [unrolled: 1-line block ×3, first 2 shown]
	.long	2402497966                      ; 0x8f3335ae
	.long	0                               ; 0x0
	.long	0                               ; 0x0
	;; [unrolled: 1-line block ×3, first 2 shown]
	.long	510028637                       ; 0x1e666b5d
	.long	0                               ; 0x0
	.long	0                               ; 0x0
	.long	0                               ; 0x0
	.long	1020057274                      ; 0x3cccd6ba
	.long	0                               ; 0x0
	.long	0                               ; 0x0
	.long	0                               ; 0x0
	.long	2040114548                      ; 0x7999ad74
	;; [unrolled: 4-line block ×5, first 2 shown]
	.long	0                               ; 0x0
	.long	0                               ; 0x0
	;; [unrolled: 1-line block ×3, first 2 shown]
	.long	622191737                       ; 0x2515e479
	.long	0                               ; 0x0
	.long	0                               ; 0x0
	;; [unrolled: 1-line block ×3, first 2 shown]
	.long	1244383475                      ; 0x4a2bc8f3
	.long	0                               ; 0x0
	.long	0                               ; 0x0
	;; [unrolled: 1-line block ×3, first 2 shown]
	.long	2488766950                      ; 0x945791e6
	.long	0                               ; 0x0
	.long	0                               ; 0x0
	;; [unrolled: 1-line block ×3, first 2 shown]
	.long	682566604                       ; 0x28af23cc
	.long	0                               ; 0x0
	.long	0                               ; 0x0
	.long	0                               ; 0x0
	.long	1365133209                      ; 0x515e4799
	.long	0                               ; 0x0
	.long	0                               ; 0x0
	.long	0                               ; 0x0
	.long	2730266419                      ; 0xa2bc8f33
	;; [unrolled: 4-line block ×4, first 2 shown]
	.long	0                               ; 0x0
	.long	0                               ; 0x0
	;; [unrolled: 1-line block ×3, first 2 shown]
	.long	367294873                       ; 0x15e47999
	.long	0                               ; 0x0
	.long	0                               ; 0x0
	.long	0                               ; 0x0
	.long	734589747                       ; 0x2bc8f333
	.long	0                               ; 0x0
	.long	0                               ; 0x0
	;; [unrolled: 1-line block ×3, first 2 shown]
	.long	1469179494                      ; 0x5791e666
	.long	0                               ; 0x0
	.long	0                               ; 0x0
	;; [unrolled: 1-line block ×32, first 2 shown]
	.long	490940283                       ; 0x1d43277b
	.long	0                               ; 0x0
	.long	0                               ; 0x0
	;; [unrolled: 1-line block ×3, first 2 shown]
	.long	981880567                       ; 0x3a864ef7
	.long	0                               ; 0x0
	.long	0                               ; 0x0
	.long	0                               ; 0x0
	.long	1963761134                      ; 0x750c9dee
	.long	0                               ; 0x0
	.long	0                               ; 0x0
	.long	0                               ; 0x0
	.long	3927522269                      ; 0xea193bdd
	;; [unrolled: 4-line block ×8, first 2 shown]
	.long	0                               ; 0x0
	.long	0                               ; 0x0
	.long	0                               ; 0x0
	.long	211676852                       ; 0xc9deeb4
	.long	0                               ; 0x0
	.long	0                               ; 0x0
	.long	0                               ; 0x0
	.long	423353704                       ; 0x193bdd68
	;; [unrolled: 4-line block ×3, first 2 shown]
	.long	0                               ; 0x0
	.long	0                               ; 0x0
	.long	0                               ; 0x0
	.long	1693414817                      ; 0x64ef75a1
	.long	0                               ; 0x0
	.long	0                               ; 0x0
	.long	0                               ; 0x0
	.long	3386829635                      ; 0xc9deeb43
	.long	0                               ; 0x0
	.long	0                               ; 0x0
	.long	0                               ; 0x0
	.long	2478691975                      ; 0x93bdd687
	.long	0                               ; 0x0
	.long	0                               ; 0x0
	;; [unrolled: 1-line block ×3, first 2 shown]
	.long	662416654                       ; 0x277bad0e
	.long	0                               ; 0x0
	.long	0                               ; 0x0
	.long	0                               ; 0x0
	.long	1324833308                      ; 0x4ef75a1c
	.long	0                               ; 0x0
	.long	0                               ; 0x0
	.long	0                               ; 0x0
	.long	2649666617                      ; 0x9deeb439
	;; [unrolled: 4-line block ×7, first 2 shown]
	.long	0                               ; 0x0
	.long	0                               ; 0x0
	;; [unrolled: 1-line block ×3, first 2 shown]
	.long	245470141                       ; 0xea193bd
	.long	0                               ; 0x0
	.long	0                               ; 0x0
	.long	0                               ; 0x0
	.long	0                               ; 0x0
	.long	126298325                       ; 0x78728d5
	.long	0                               ; 0x0
	.long	0                               ; 0x0
	.long	0                               ; 0x0
	.long	252596651                       ; 0xf0e51ab
	.long	0                               ; 0x0
	.long	0                               ; 0x0
	.long	0                               ; 0x0
	;; [unrolled: 4-line block ×3, first 2 shown]
	.long	1010386606                      ; 0x3c3946ae
	.long	0                               ; 0x0
	.long	0                               ; 0x0
	.long	0                               ; 0x0
	.long	2020773212                      ; 0x78728d5c
	.long	0                               ; 0x0
	.long	0                               ; 0x0
	.long	0                               ; 0x0
	.long	4041546425                      ; 0xf0e51ab9
	.long	0                               ; 0x0
	.long	0                               ; 0x0
	.long	0                               ; 0x0
	.long	3788125555                      ; 0xe1ca3573
	.long	0                               ; 0x0
	.long	0                               ; 0x0
	.long	0                               ; 0x0
	.long	3281283814                      ; 0xc3946ae6
	.long	0                               ; 0x0
	.long	0                               ; 0x0
	.long	0                               ; 0x0
	.long	2267600332                      ; 0x8728d5cc
	.long	0                               ; 0x0
	.long	0                               ; 0x0
	.long	0                               ; 0x0
	.long	240233369                       ; 0xe51ab99
	.long	0                               ; 0x0
	.long	0                               ; 0x0
	.long	0                               ; 0x0
	.long	480466738                       ; 0x1ca35732
	.long	0                               ; 0x0
	.long	0                               ; 0x0
	.long	0                               ; 0x0
	;; [unrolled: 4-line block ×3, first 2 shown]
	.long	1921866953                      ; 0x728d5cc9
	.long	0                               ; 0x0
	.long	0                               ; 0x0
	.long	0                               ; 0x0
	.long	3843733907                      ; 0xe51ab993
	.long	0                               ; 0x0
	.long	0                               ; 0x0
	.long	0                               ; 0x0
	;; [unrolled: 4-line block ×4, first 2 shown]
	.long	685100186                       ; 0x28d5cc9a
	.long	0                               ; 0x0
	.long	0                               ; 0x0
	.long	0                               ; 0x0
	.long	1370200372                      ; 0x51ab9934
	.long	0                               ; 0x0
	.long	0                               ; 0x0
	.long	0                               ; 0x0
	.long	2740400744                      ; 0xa3573268
	.long	0                               ; 0x0
	.long	0                               ; 0x0
	.long	0                               ; 0x0
	.long	1185834193                      ; 0x46ae64d1
	.long	0                               ; 0x0
	.long	0                               ; 0x0
	.long	0                               ; 0x0
	.long	2371668387                      ; 0x8d5cc9a3
	.long	0                               ; 0x0
	.long	0                               ; 0x0
	;; [unrolled: 1-line block ×3, first 2 shown]
	.long	448369479                       ; 0x1ab99347
	.long	0                               ; 0x0
	.long	0                               ; 0x0
	;; [unrolled: 1-line block ×3, first 2 shown]
	.long	896738958                       ; 0x3573268e
	.long	0                               ; 0x0
	.long	0                               ; 0x0
	.long	0                               ; 0x0
	.long	1793477917                      ; 0x6ae64d1d
	.long	0                               ; 0x0
	.long	0                               ; 0x0
	.long	0                               ; 0x0
	.long	3586955835                      ; 0xd5cc9a3b
	;; [unrolled: 4-line block ×8, first 2 shown]
	.long	0                               ; 0x0
	.long	0                               ; 0x0
	;; [unrolled: 1-line block ×16, first 2 shown]
	.long	1457526048                      ; 0x56e01520
	.long	0                               ; 0x0
	.long	0                               ; 0x0
	.long	0                               ; 0x0
	.long	2915052096                      ; 0xadc02a40
	.long	0                               ; 0x0
	.long	0                               ; 0x0
	.long	0                               ; 0x0
	;; [unrolled: 4-line block ×11, first 2 shown]
	.long	11076440                        ; 0xa90358
	.long	0                               ; 0x0
	.long	0                               ; 0x0
	.long	0                               ; 0x0
	.long	22152880                        ; 0x15206b0
	.long	0                               ; 0x0
	.long	0                               ; 0x0
	.long	0                               ; 0x0
	.long	44305760                        ; 0x2a40d60
	.long	0                               ; 0x0
	.long	0                               ; 0x0
	.long	0                               ; 0x0
	.long	88611520                        ; 0x5481ac0
	.long	0                               ; 0x0
	.long	0                               ; 0x0
	.long	0                               ; 0x0
	.long	177223041                       ; 0xa903581
	.long	0                               ; 0x0
	.long	0                               ; 0x0
	.long	0                               ; 0x0
	.long	354446082                       ; 0x15206b02
	.long	0                               ; 0x0
	.long	0                               ; 0x0
	.long	0                               ; 0x0
	;; [unrolled: 4-line block ×3, first 2 shown]
	.long	1417784328                      ; 0x5481ac08
	.long	0                               ; 0x0
	.long	0                               ; 0x0
	.long	0                               ; 0x0
	.long	2835568656                      ; 0xa9035810
	.long	0                               ; 0x0
	.long	0                               ; 0x0
	.long	0                               ; 0x0
	;; [unrolled: 4-line block ×6, first 2 shown]
	.long	543883789                       ; 0x206b020d
	.long	0                               ; 0x0
	.long	0                               ; 0x0
	.long	0                               ; 0x0
	.long	1087767578                      ; 0x40d6041a
	.long	0                               ; 0x0
	.long	0                               ; 0x0
	.long	0                               ; 0x0
	.long	2175535156                      ; 0x81ac0834
	;; [unrolled: 4-line block ×4, first 2 shown]
	.long	0                               ; 0x0
	.long	0                               ; 0x0
	;; [unrolled: 1-line block ×20, first 2 shown]
	.long	1801783692                      ; 0x6b65098c
	.long	0                               ; 0x0
	.long	0                               ; 0x0
	.long	0                               ; 0x0
	.long	3603567385                      ; 0xd6ca1319
	.long	0                               ; 0x0
	.long	0                               ; 0x0
	.long	0                               ; 0x0
	;; [unrolled: 4-line block ×11, first 2 shown]
	.long	676095274                       ; 0x284c652a
	.long	0                               ; 0x0
	.long	0                               ; 0x0
	.long	0                               ; 0x0
	.long	1352190548                      ; 0x5098ca54
	.long	0                               ; 0x0
	.long	0                               ; 0x0
	.long	0                               ; 0x0
	.long	2704381097                      ; 0xa13194a9
	;; [unrolled: 4-line block ×14, first 2 shown]
	.long	0                               ; 0x0
	.long	0                               ; 0x0
	;; [unrolled: 1-line block ×3, first 2 shown]
	.long	450445923                       ; 0x1ad94263
	.long	0                               ; 0x0
	.long	0                               ; 0x0
	;; [unrolled: 1-line block ×3, first 2 shown]
	.long	900891846                       ; 0x35b284c6
	.long	0                               ; 0x0
	.long	0                               ; 0x0
	;; [unrolled: 1-line block ×32, first 2 shown]
	.long	42029323                        ; 0x281510b
	.long	0                               ; 0x0
	.long	0                               ; 0x0
	;; [unrolled: 1-line block ×3, first 2 shown]
	.long	84058646                        ; 0x502a216
	.long	0                               ; 0x0
	.long	0                               ; 0x0
	.long	0                               ; 0x0
	.long	168117293                       ; 0xa05442d
	.long	0                               ; 0x0
	.long	0                               ; 0x0
	.long	0                               ; 0x0
	.long	336234586                       ; 0x140a885a
	;; [unrolled: 4-line block ×3, first 2 shown]
	.long	0                               ; 0x0
	.long	0                               ; 0x0
	.long	0                               ; 0x0
	.long	1344938344                      ; 0x502a2168
	.long	0                               ; 0x0
	.long	0                               ; 0x0
	.long	0                               ; 0x0
	.long	2689876689                      ; 0xa05442d1
	;; [unrolled: 4-line block ×4, first 2 shown]
	.long	0                               ; 0x0
	.long	0                               ; 0x0
	.long	0                               ; 0x0
	.long	44177035                        ; 0x2a2168b
	.long	0                               ; 0x0
	.long	0                               ; 0x0
	;; [unrolled: 1-line block ×3, first 2 shown]
	.long	88354071                        ; 0x5442d17
	.long	0                               ; 0x0
	.long	0                               ; 0x0
	.long	0                               ; 0x0
	.long	176708143                       ; 0xa885a2f
	.long	0                               ; 0x0
	.long	0                               ; 0x0
	.long	0                               ; 0x0
	.long	353416286                       ; 0x1510b45e
	;; [unrolled: 4-line block ×3, first 2 shown]
	.long	0                               ; 0x0
	.long	0                               ; 0x0
	.long	0                               ; 0x0
	.long	1413665147                      ; 0x5442d17b
	.long	0                               ; 0x0
	.long	0                               ; 0x0
	.long	0                               ; 0x0
	.long	2827330294                      ; 0xa885a2f6
	;; [unrolled: 4-line block ×6, first 2 shown]
	.long	0                               ; 0x0
	.long	0                               ; 0x0
	;; [unrolled: 1-line block ×3, first 2 shown]
	.long	280256202                       ; 0x10b45eca
	.long	0                               ; 0x0
	.long	0                               ; 0x0
	;; [unrolled: 1-line block ×3, first 2 shown]
	.long	560512405                       ; 0x2168bd95
	.long	0                               ; 0x0
	.long	0                               ; 0x0
	;; [unrolled: 1-line block ×3, first 2 shown]
	.long	1078995489                      ; 0x40502a21
	.long	0                               ; 0x0
	.long	0                               ; 0x0
	.long	0                               ; 0x0
	.long	2157990978                      ; 0x80a05442
	.long	0                               ; 0x0
	.long	0                               ; 0x0
	;; [unrolled: 1-line block ×3, first 2 shown]
	.long	21014661                        ; 0x140a885
	.long	0                               ; 0x0
	.long	0                               ; 0x0
	;; [unrolled: 1-line block ×4, first 2 shown]
	.long	3480795388                      ; 0xcf78b8fc
	.long	0                               ; 0x0
	.long	0                               ; 0x0
	.long	0                               ; 0x0
	.long	2666623480                      ; 0x9ef171f8
	.long	0                               ; 0x0
	.long	0                               ; 0x0
	.long	0                               ; 0x0
	;; [unrolled: 4-line block ×13, first 2 shown]
	.long	387941461                       ; 0x171f8455
	.long	0                               ; 0x0
	.long	0                               ; 0x0
	;; [unrolled: 1-line block ×3, first 2 shown]
	.long	775882923                       ; 0x2e3f08ab
	.long	0                               ; 0x0
	.long	0                               ; 0x0
	.long	0                               ; 0x0
	.long	1551765846                      ; 0x5c7e1156
	.long	0                               ; 0x0
	.long	0                               ; 0x0
	.long	0                               ; 0x0
	.long	3103531693                      ; 0xb8fc22ad
	;; [unrolled: 4-line block ×6, first 2 shown]
	.long	0                               ; 0x0
	.long	0                               ; 0x0
	;; [unrolled: 1-line block ×3, first 2 shown]
	.long	528766369                       ; 0x1f8455a1
	.long	0                               ; 0x0
	.long	0                               ; 0x0
	.long	0                               ; 0x0
	.long	1057532739                      ; 0x3f08ab43
	.long	0                               ; 0x0
	.long	0                               ; 0x0
	.long	0                               ; 0x0
	.long	2115065479                      ; 0x7e115687
	;; [unrolled: 4-line block ×3, first 2 shown]
	.long	0                               ; 0x0
	.long	0                               ; 0x0
	.long	0                               ; 0x0
	.long	926802659                       ; 0x373de2e3
	.long	0                               ; 0x0
	.long	0                               ; 0x0
	.long	0                               ; 0x0
	.long	1853605319                      ; 0x6e7bc5c7
	.long	0                               ; 0x0
	.long	0                               ; 0x0
	.long	0                               ; 0x0
	.long	3707210639                      ; 0xdcf78b8f
	;; [unrolled: 4-line block ×5, first 2 shown]
	.long	0                               ; 0x0
	.long	0                               ; 0x0
	;; [unrolled: 1-line block ×16, first 2 shown]
	.long	4124527681                      ; 0xf5d74c41
	.long	0                               ; 0x0
	.long	0                               ; 0x0
	.long	0                               ; 0x0
	.long	3954088066                      ; 0xebae9882
	.long	0                               ; 0x0
	.long	0                               ; 0x0
	.long	0                               ; 0x0
	;; [unrolled: 4-line block ×18, first 2 shown]
	.long	822366543                       ; 0x3104514f
	.long	0                               ; 0x0
	.long	0                               ; 0x0
	.long	0                               ; 0x0
	.long	1644733087                      ; 0x6208a29f
	.long	0                               ; 0x0
	.long	0                               ; 0x0
	.long	0                               ; 0x0
	.long	3289466174                      ; 0xc411453e
	;; [unrolled: 4-line block ×3, first 2 shown]
	.long	0                               ; 0x0
	.long	0                               ; 0x0
	;; [unrolled: 1-line block ×3, first 2 shown]
	.long	272962810                       ; 0x104514fa
	.long	0                               ; 0x0
	.long	0                               ; 0x0
	;; [unrolled: 1-line block ×3, first 2 shown]
	.long	545925621                       ; 0x208a29f5
	.long	0                               ; 0x0
	.long	0                               ; 0x0
	;; [unrolled: 1-line block ×3, first 2 shown]
	.long	1091851242                      ; 0x411453ea
	.long	0                               ; 0x0
	.long	0                               ; 0x0
	;; [unrolled: 1-line block ×3, first 2 shown]
	.long	2183702484                      ; 0x8228a7d4
	.long	0                               ; 0x0
	.long	0                               ; 0x0
	;; [unrolled: 1-line block ×3, first 2 shown]
	.long	72437672                        ; 0x4514fa8
	.long	0                               ; 0x0
	.long	0                               ; 0x0
	;; [unrolled: 1-line block ×3, first 2 shown]
	.long	4252357392                      ; 0xfd75d310
	.long	0                               ; 0x0
	.long	0                               ; 0x0
	;; [unrolled: 1-line block ×3, first 2 shown]
	.long	4209747488                      ; 0xfaeba620
	.long	0                               ; 0x0
	.long	0                               ; 0x0
	.long	0                               ; 0x0
	.long	0                               ; 0x0
	.long	0                               ; 0x0
	.long	0                               ; 0x0
	.long	0                               ; 0x0
	.long	0                               ; 0x0
	.long	0                               ; 0x0
	.long	0                               ; 0x0
	.long	0                               ; 0x0
	.long	0                               ; 0x0
	.long	0                               ; 0x0
	.long	0                               ; 0x0
	.long	0                               ; 0x0
	.long	0                               ; 0x0
	.long	0                               ; 0x0
	.long	0                               ; 0x0
	.long	0                               ; 0x0
	.long	0                               ; 0x0
	.long	2656366736                      ; 0x9e54f090
	.long	0                               ; 0x0
	.long	0                               ; 0x0
	.long	0                               ; 0x0
	.long	1017766176                      ; 0x3ca9e120
	.long	0                               ; 0x0
	.long	0                               ; 0x0
	.long	0                               ; 0x0
	;; [unrolled: 4-line block ×7, first 2 shown]
	.long	712525826                       ; 0x2a784802
	.long	0                               ; 0x0
	.long	0                               ; 0x0
	.long	0                               ; 0x0
	.long	1425051652                      ; 0x54f09004
	.long	0                               ; 0x0
	.long	0                               ; 0x0
	.long	0                               ; 0x0
	.long	2850103304                      ; 0xa9e12008
	;; [unrolled: 4-line block ×10, first 2 shown]
	.long	0                               ; 0x0
	.long	0                               ; 0x0
	;; [unrolled: 1-line block ×3, first 2 shown]
	.long	820483388                       ; 0x30e7953c
	.long	0                               ; 0x0
	.long	0                               ; 0x0
	.long	0                               ; 0x0
	.long	1640966776                      ; 0x61cf2a78
	.long	0                               ; 0x0
	.long	0                               ; 0x0
	.long	0                               ; 0x0
	.long	3281933552                      ; 0xc39e54f0
	;; [unrolled: 4-line block ×3, first 2 shown]
	.long	0                               ; 0x0
	.long	0                               ; 0x0
	.long	0                               ; 0x0
	.long	242832322                       ; 0xe7953c2
	.long	0                               ; 0x0
	.long	0                               ; 0x0
	.long	0                               ; 0x0
	.long	485664644                       ; 0x1cf2a784
	;; [unrolled: 4-line block ×3, first 2 shown]
	.long	0                               ; 0x0
	.long	0                               ; 0x0
	.long	0                               ; 0x0
	.long	1942658578                      ; 0x73ca9e12
	.long	0                               ; 0x0
	.long	0                               ; 0x0
	.long	0                               ; 0x0
	.long	3885317156                      ; 0xe7953c24
	.long	0                               ; 0x0
	.long	0                               ; 0x0
	.long	0                               ; 0x0
	.long	3475667016                      ; 0xcf2a7848
	.long	0                               ; 0x0
	.long	0                               ; 0x0
	;; [unrolled: 1-line block ×32, first 2 shown]
	.long	537135248                       ; 0x20040890
	.long	0                               ; 0x0
	.long	0                               ; 0x0
	;; [unrolled: 1-line block ×3, first 2 shown]
	.long	1074270496                      ; 0x40081120
	.long	0                               ; 0x0
	.long	0                               ; 0x0
	;; [unrolled: 1-line block ×3, first 2 shown]
	.long	2148540992                      ; 0x80102240
	.long	0                               ; 0x0
	.long	0                               ; 0x0
	.long	0                               ; 0x0
	.long	2114688                         ; 0x204480
	.long	0                               ; 0x0
	.long	0                               ; 0x0
	.long	0                               ; 0x0
	.long	4229377                         ; 0x408901
	;; [unrolled: 4-line block ×3, first 2 shown]
	.long	0                               ; 0x0
	.long	0                               ; 0x0
	.long	0                               ; 0x0
	.long	16917508                        ; 0x1022404
	.long	0                               ; 0x0
	.long	0                               ; 0x0
	.long	0                               ; 0x0
	.long	33835017                        ; 0x2044809
	;; [unrolled: 4-line block ×3, first 2 shown]
	.long	0                               ; 0x0
	.long	0                               ; 0x0
	.long	0                               ; 0x0
	.long	135340068                       ; 0x8112024
	.long	0                               ; 0x0
	.long	0                               ; 0x0
	.long	0                               ; 0x0
	.long	270680136                       ; 0x10224048
	;; [unrolled: 4-line block ×3, first 2 shown]
	.long	0                               ; 0x0
	.long	0                               ; 0x0
	.long	0                               ; 0x0
	.long	1082720546                      ; 0x40890122
	.long	0                               ; 0x0
	.long	0                               ; 0x0
	;; [unrolled: 1-line block ×3, first 2 shown]
	.long	2165441092                      ; 0x81120244
	.long	0                               ; 0x0
	.long	0                               ; 0x0
	;; [unrolled: 1-line block ×3, first 2 shown]
	.long	35914889                        ; 0x2240489
	.long	0                               ; 0x0
	.long	0                               ; 0x0
	;; [unrolled: 1-line block ×3, first 2 shown]
	.long	71829779                        ; 0x4480913
	.long	0                               ; 0x0
	.long	0                               ; 0x0
	.long	0                               ; 0x0
	.long	143659558                       ; 0x8901226
	.long	0                               ; 0x0
	.long	0                               ; 0x0
	.long	0                               ; 0x0
	.long	287319116                       ; 0x1120244c
	;; [unrolled: 4-line block ×3, first 2 shown]
	.long	0                               ; 0x0
	.long	0                               ; 0x0
	;; [unrolled: 1-line block ×3, first 2 shown]
	.long	1149276464                      ; 0x44809130
	.long	0                               ; 0x0
	.long	0                               ; 0x0
	;; [unrolled: 1-line block ×3, first 2 shown]
	.long	2298552928                      ; 0x89012260
	.long	0                               ; 0x0
	.long	0                               ; 0x0
	;; [unrolled: 1-line block ×3, first 2 shown]
	.long	302138561                       ; 0x120244c1
	.long	0                               ; 0x0
	.long	0                               ; 0x0
	;; [unrolled: 1-line block ×3, first 2 shown]
	.long	67141906                        ; 0x4008112
	.long	0                               ; 0x0
	.long	0                               ; 0x0
	.long	0                               ; 0x0
	.long	134283812                       ; 0x8010224
	.long	0                               ; 0x0
	.long	0                               ; 0x0
	;; [unrolled: 1-line block ×3, first 2 shown]
	.long	268567624                       ; 0x10020448
	.long	0                               ; 0x0
	.long	0                               ; 0x0
	.long	0                               ; 0x0
	.long	0                               ; 0x0
	.long	460238757                       ; 0x1b6eafa5
	.long	0                               ; 0x0
	.long	0                               ; 0x0
	;; [unrolled: 1-line block ×3, first 2 shown]
	.long	920477515                       ; 0x36dd5f4b
	.long	0                               ; 0x0
	.long	0                               ; 0x0
	.long	0                               ; 0x0
	.long	1840955030                      ; 0x6dbabe96
	.long	0                               ; 0x0
	.long	0                               ; 0x0
	.long	0                               ; 0x0
	.long	3681910060                      ; 0xdb757d2c
	;; [unrolled: 4-line block ×27, first 2 shown]
	.long	0                               ; 0x0
	.long	0                               ; 0x0
	;; [unrolled: 1-line block ×3, first 2 shown]
	.long	115059689                       ; 0x6dbabe9
	.long	0                               ; 0x0
	.long	0                               ; 0x0
	;; [unrolled: 1-line block ×3, first 2 shown]
	.long	230119378                       ; 0xdb757d2
	.long	0                               ; 0x0
	.long	0                               ; 0x0
	;; [unrolled: 1-line block ×16, first 2 shown]
	.long	3560175108                      ; 0xd433f604
	.long	0                               ; 0x0
	.long	0                               ; 0x0
	.long	0                               ; 0x0
	.long	2825382920                      ; 0xa867ec08
	.long	0                               ; 0x0
	.long	0                               ; 0x0
	.long	0                               ; 0x0
	;; [unrolled: 4-line block ×6, first 2 shown]
	.long	217940233                       ; 0xcfd8109
	.long	0                               ; 0x0
	.long	0                               ; 0x0
	.long	0                               ; 0x0
	.long	435880467                       ; 0x19fb0213
	.long	0                               ; 0x0
	.long	0                               ; 0x0
	.long	0                               ; 0x0
	;; [unrolled: 4-line block ×3, first 2 shown]
	.long	1743521871                      ; 0x67ec084f
	.long	0                               ; 0x0
	.long	0                               ; 0x0
	.long	0                               ; 0x0
	.long	3487043743                      ; 0xcfd8109f
	.long	0                               ; 0x0
	.long	0                               ; 0x0
	.long	0                               ; 0x0
	;; [unrolled: 4-line block ×14, first 2 shown]
	.long	34861240                        ; 0x213f0b8
	.long	0                               ; 0x0
	.long	0                               ; 0x0
	.long	0                               ; 0x0
	.long	69722480                        ; 0x427e170
	.long	0                               ; 0x0
	.long	0                               ; 0x0
	;; [unrolled: 1-line block ×3, first 2 shown]
	.long	139444961                       ; 0x84fc2e1
	.long	0                               ; 0x0
	.long	0                               ; 0x0
	;; [unrolled: 1-line block ×3, first 2 shown]
	.long	278889922                       ; 0x109f85c2
	.long	0                               ; 0x0
	.long	0                               ; 0x0
	;; [unrolled: 1-line block ×3, first 2 shown]
	.long	4111269249                      ; 0xf50cfd81
	.long	0                               ; 0x0
	.long	0                               ; 0x0
	;; [unrolled: 1-line block ×3, first 2 shown]
	.long	3927571202                      ; 0xea19fb02
	.long	0                               ; 0x0
	.long	0                               ; 0x0
	.long	0                               ; 0x0
	.long	0                               ; 0x0
	.long	0                               ; 0x0
	.long	0                               ; 0x0
	.long	0                               ; 0x0
	.long	0                               ; 0x0
	.long	0                               ; 0x0
	.long	0                               ; 0x0
	.long	0                               ; 0x0
	.long	0                               ; 0x0
	.long	0                               ; 0x0
	.long	0                               ; 0x0
	.long	0                               ; 0x0
	.long	0                               ; 0x0
	.long	0                               ; 0x0
	.long	0                               ; 0x0
	.long	0                               ; 0x0
	.long	0                               ; 0x0
	.long	2424557694                      ; 0x9083d07e
	.long	0                               ; 0x0
	.long	0                               ; 0x0
	;; [unrolled: 1-line block ×3, first 2 shown]
	.long	554148093                       ; 0x2107a0fd
	.long	0                               ; 0x0
	.long	0                               ; 0x0
	;; [unrolled: 1-line block ×3, first 2 shown]
	.long	1108296186                      ; 0x420f41fa
	.long	0                               ; 0x0
	.long	0                               ; 0x0
	;; [unrolled: 1-line block ×3, first 2 shown]
	.long	2216592373                      ; 0x841e83f5
	.long	0                               ; 0x0
	.long	0                               ; 0x0
	.long	0                               ; 0x0
	.long	138217450                       ; 0x83d07ea
	.long	0                               ; 0x0
	.long	0                               ; 0x0
	.long	0                               ; 0x0
	.long	276434901                       ; 0x107a0fd5
	;; [unrolled: 4-line block ×3, first 2 shown]
	.long	0                               ; 0x0
	.long	0                               ; 0x0
	;; [unrolled: 1-line block ×3, first 2 shown]
	.long	1105739604                      ; 0x41e83f54
	.long	0                               ; 0x0
	.long	0                               ; 0x0
	;; [unrolled: 1-line block ×3, first 2 shown]
	.long	2211479208                      ; 0x83d07ea8
	.long	0                               ; 0x0
	.long	0                               ; 0x0
	.long	0                               ; 0x0
	.long	127991121                       ; 0x7a0fd51
	.long	0                               ; 0x0
	.long	0                               ; 0x0
	.long	0                               ; 0x0
	.long	255982243                       ; 0xf41faa3
	;; [unrolled: 4-line block ×3, first 2 shown]
	.long	0                               ; 0x0
	.long	0                               ; 0x0
	.long	0                               ; 0x0
	.long	1023928972                      ; 0x3d07ea8c
	.long	0                               ; 0x0
	.long	0                               ; 0x0
	.long	0                               ; 0x0
	.long	2047857944                      ; 0x7a0fd518
	;; [unrolled: 4-line block ×8, first 2 shown]
	.long	0                               ; 0x0
	.long	0                               ; 0x0
	;; [unrolled: 1-line block ×3, first 2 shown]
	.long	395346896                       ; 0x179083d0
	.long	0                               ; 0x0
	.long	0                               ; 0x0
	;; [unrolled: 1-line block ×3, first 2 shown]
	.long	790693792                       ; 0x2f2107a0
	.long	0                               ; 0x0
	.long	0                               ; 0x0
	.long	0                               ; 0x0
	.long	1581387585                      ; 0x5e420f41
	.long	0                               ; 0x0
	.long	0                               ; 0x0
	.long	0                               ; 0x0
	.long	3162775171                      ; 0xbc841e83
	;; [unrolled: 4-line block ×6, first 2 shown]
	.long	0                               ; 0x0
	.long	0                               ; 0x0
	;; [unrolled: 1-line block ×32, first 2 shown]
	.long	1048576                         ; 0x100000
	.long	0                               ; 0x0
	.long	0                               ; 0x0
	.long	0                               ; 0x0
	.long	2097152                         ; 0x200000
	.long	0                               ; 0x0
	.long	0                               ; 0x0
	.long	0                               ; 0x0
	;; [unrolled: 4-line block ×4, first 2 shown]
	.long	16777220                        ; 0x1000004
	.long	0                               ; 0x0
	.long	0                               ; 0x0
	.long	0                               ; 0x0
	.long	33554441                        ; 0x2000009
	.long	0                               ; 0x0
	.long	0                               ; 0x0
	.long	0                               ; 0x0
	;; [unrolled: 4-line block ×3, first 2 shown]
	.long	134217764                       ; 0x8000024
	.long	0                               ; 0x0
	.long	0                               ; 0x0
	.long	0                               ; 0x0
	.long	268435528                       ; 0x10000048
	.long	0                               ; 0x0
	.long	0                               ; 0x0
	.long	0                               ; 0x0
	;; [unrolled: 4-line block ×3, first 2 shown]
	.long	1073742112                      ; 0x40000120
	.long	0                               ; 0x0
	.long	0                               ; 0x0
	.long	0                               ; 0x0
	.long	2147484224                      ; 0x80000240
	.long	0                               ; 0x0
	.long	0                               ; 0x0
	.long	0                               ; 0x0
	.long	1152                            ; 0x480
	.long	0                               ; 0x0
	.long	0                               ; 0x0
	.long	0                               ; 0x0
	.long	2304                            ; 0x900
	;; [unrolled: 4-line block ×4, first 2 shown]
	.long	0                               ; 0x0
	.long	0                               ; 0x0
	.long	0                               ; 0x0
	.long	18432                           ; 0x4800
	.long	0                               ; 0x0
	.long	0                               ; 0x0
	.long	0                               ; 0x0
	.long	36864                           ; 0x9000
	;; [unrolled: 4-line block ×3, first 2 shown]
	.long	0                               ; 0x0
	.long	0                               ; 0x0
	.long	0                               ; 0x0
	.long	147456                          ; 0x24000
	.long	0                               ; 0x0
	.long	0                               ; 0x0
	.long	0                               ; 0x0
	.long	294912                          ; 0x48000
	;; [unrolled: 4-line block ×6, first 2 shown]
	.long	0                               ; 0x0
	.long	0                               ; 0x0
	;; [unrolled: 1-line block ×4, first 2 shown]
	.long	1980210557                      ; 0x76079d7d
	.long	0                               ; 0x0
	.long	0                               ; 0x0
	.long	0                               ; 0x0
	.long	3960421115                      ; 0xec0f3afb
	.long	0                               ; 0x0
	.long	0                               ; 0x0
	.long	0                               ; 0x0
	;; [unrolled: 4-line block ×7, first 2 shown]
	.long	63880951                        ; 0x3cebef7
	.long	0                               ; 0x0
	.long	0                               ; 0x0
	.long	0                               ; 0x0
	.long	127761903                       ; 0x79d7def
	.long	0                               ; 0x0
	.long	0                               ; 0x0
	.long	0                               ; 0x0
	.long	255523807                       ; 0xf3afbdf
	;; [unrolled: 4-line block ×3, first 2 shown]
	.long	0                               ; 0x0
	.long	0                               ; 0x0
	.long	0                               ; 0x0
	.long	1022095230                      ; 0x3cebef7e
	.long	0                               ; 0x0
	.long	0                               ; 0x0
	.long	0                               ; 0x0
	.long	2044190460                      ; 0x79d7defc
	;; [unrolled: 4-line block ×6, first 2 shown]
	.long	0                               ; 0x0
	.long	0                               ; 0x0
	;; [unrolled: 1-line block ×3, first 2 shown]
	.long	989585283                       ; 0x3afbdf83
	.long	0                               ; 0x0
	.long	0                               ; 0x0
	.long	0                               ; 0x0
	.long	1979170566                      ; 0x75f7bf06
	.long	0                               ; 0x0
	.long	0                               ; 0x0
	.long	0                               ; 0x0
	.long	3958341132                      ; 0xebef7e0c
	;; [unrolled: 4-line block ×8, first 2 shown]
	.long	0                               ; 0x0
	.long	0                               ; 0x0
	;; [unrolled: 1-line block ×3, first 2 shown]
	.long	464534763                       ; 0x1bb03ceb
	.long	0                               ; 0x0
	.long	0                               ; 0x0
	;; [unrolled: 1-line block ×3, first 2 shown]
	.long	929069527                       ; 0x376079d7
	.long	0                               ; 0x0
	.long	0                               ; 0x0
	.long	0                               ; 0x0
	.long	1858139055                      ; 0x6ec0f3af
	.long	0                               ; 0x0
	.long	0                               ; 0x0
	.long	0                               ; 0x0
	.long	3716278111                      ; 0xdd81e75f
	;; [unrolled: 4-line block ×3, first 2 shown]
	.long	0                               ; 0x0
	.long	0                               ; 0x0
	;; [unrolled: 1-line block ×16, first 2 shown]
	.long	3625984309                      ; 0xd8202135
	.long	0                               ; 0x0
	.long	0                               ; 0x0
	.long	0                               ; 0x0
	.long	2957001323                      ; 0xb040426b
	.long	0                               ; 0x0
	.long	0                               ; 0x0
	.long	0                               ; 0x0
	;; [unrolled: 4-line block ×5, first 2 shown]
	.long	67380920                        ; 0x40426b8
	.long	0                               ; 0x0
	.long	0                               ; 0x0
	.long	0                               ; 0x0
	.long	134761841                       ; 0x8084d71
	.long	0                               ; 0x0
	.long	0                               ; 0x0
	.long	0                               ; 0x0
	.long	269523682                       ; 0x10109ae2
	;; [unrolled: 4-line block ×3, first 2 shown]
	.long	0                               ; 0x0
	.long	0                               ; 0x0
	;; [unrolled: 1-line block ×3, first 2 shown]
	.long	1078094730                      ; 0x40426b8a
	.long	0                               ; 0x0
	.long	0                               ; 0x0
	;; [unrolled: 1-line block ×3, first 2 shown]
	.long	2156189460                      ; 0x8084d714
	.long	0                               ; 0x0
	.long	0                               ; 0x0
	.long	0                               ; 0x0
	.long	17411624                        ; 0x109ae28
	.long	0                               ; 0x0
	.long	0                               ; 0x0
	.long	0                               ; 0x0
	.long	34823248                        ; 0x2135c50
	;; [unrolled: 4-line block ×3, first 2 shown]
	.long	0                               ; 0x0
	.long	0                               ; 0x0
	.long	0                               ; 0x0
	.long	139292993                       ; 0x84d7141
	.long	0                               ; 0x0
	.long	0                               ; 0x0
	.long	0                               ; 0x0
	.long	278585986                       ; 0x109ae282
	;; [unrolled: 4-line block ×3, first 2 shown]
	.long	0                               ; 0x0
	.long	0                               ; 0x0
	;; [unrolled: 1-line block ×3, first 2 shown]
	.long	1114343946                      ; 0x426b8a0a
	.long	0                               ; 0x0
	.long	0                               ; 0x0
	;; [unrolled: 1-line block ×3, first 2 shown]
	.long	2228687892                      ; 0x84d71414
	.long	0                               ; 0x0
	.long	0                               ; 0x0
	.long	0                               ; 0x0
	.long	162408489                       ; 0x9ae2829
	.long	0                               ; 0x0
	.long	0                               ; 0x0
	.long	0                               ; 0x0
	.long	324816978                       ; 0x135c5052
	;; [unrolled: 4-line block ×3, first 2 shown]
	.long	0                               ; 0x0
	.long	0                               ; 0x0
	;; [unrolled: 1-line block ×3, first 2 shown]
	.long	1299267915                      ; 0x4d71414b
	.long	0                               ; 0x0
	.long	0                               ; 0x0
	;; [unrolled: 1-line block ×3, first 2 shown]
	.long	2598535831                      ; 0x9ae28297
	.long	0                               ; 0x0
	.long	0                               ; 0x0
	;; [unrolled: 1-line block ×3, first 2 shown]
	.long	902104367                       ; 0x35c5052f
	.long	0                               ; 0x0
	.long	0                               ; 0x0
	.long	0                               ; 0x0
	.long	1804208734                      ; 0x6b8a0a5e
	.long	0                               ; 0x0
	.long	0                               ; 0x0
	.long	0                               ; 0x0
	.long	3608417468                      ; 0xd71414bc
	;; [unrolled: 4-line block ×4, first 2 shown]
	.long	0                               ; 0x0
	.long	0                               ; 0x0
	;; [unrolled: 1-line block ×20, first 2 shown]
	.long	70539992                        ; 0x4345ad8
	.long	0                               ; 0x0
	.long	0                               ; 0x0
	.long	0                               ; 0x0
	.long	141079985                       ; 0x868b5b1
	.long	0                               ; 0x0
	.long	0                               ; 0x0
	.long	0                               ; 0x0
	.long	282159971                       ; 0x10d16b63
	;; [unrolled: 4-line block ×3, first 2 shown]
	.long	0                               ; 0x0
	.long	0                               ; 0x0
	;; [unrolled: 1-line block ×3, first 2 shown]
	.long	1128639887                      ; 0x4345ad8f
	.long	0                               ; 0x0
	.long	0                               ; 0x0
	;; [unrolled: 1-line block ×3, first 2 shown]
	.long	2257279774                      ; 0x868b5b1e
	.long	0                               ; 0x0
	.long	0                               ; 0x0
	.long	0                               ; 0x0
	.long	219592253                       ; 0xd16b63d
	.long	0                               ; 0x0
	.long	0                               ; 0x0
	.long	0                               ; 0x0
	.long	439184507                       ; 0x1a2d6c7b
	;; [unrolled: 4-line block ×3, first 2 shown]
	.long	0                               ; 0x0
	.long	0                               ; 0x0
	.long	0                               ; 0x0
	.long	1756738029                      ; 0x68b5b1ed
	.long	0                               ; 0x0
	.long	0                               ; 0x0
	.long	0                               ; 0x0
	.long	3513476059                      ; 0xd16b63db
	;; [unrolled: 4-line block ×5, first 2 shown]
	.long	0                               ; 0x0
	.long	0                               ; 0x0
	;; [unrolled: 1-line block ×3, first 2 shown]
	.long	381042109                       ; 0x16b63dbd
	.long	0                               ; 0x0
	.long	0                               ; 0x0
	;; [unrolled: 1-line block ×3, first 2 shown]
	.long	693641634                       ; 0x295821a2
	.long	0                               ; 0x0
	.long	0                               ; 0x0
	.long	0                               ; 0x0
	.long	1387283269                      ; 0x52b04345
	.long	0                               ; 0x0
	.long	0                               ; 0x0
	.long	0                               ; 0x0
	.long	2774566539                      ; 0xa560868b
	.long	0                               ; 0x0
	.long	0                               ; 0x0
	.long	0                               ; 0x0
	.long	1254165782                      ; 0x4ac10d16
	.long	0                               ; 0x0
	.long	0                               ; 0x0
	.long	0                               ; 0x0
	.long	2508331565                      ; 0x95821a2d
	.long	0                               ; 0x0
	.long	0                               ; 0x0
	;; [unrolled: 1-line block ×3, first 2 shown]
	.long	721695834                       ; 0x2b04345a
	.long	0                               ; 0x0
	.long	0                               ; 0x0
	.long	0                               ; 0x0
	.long	1443391669                      ; 0x560868b5
	.long	0                               ; 0x0
	.long	0                               ; 0x0
	.long	0                               ; 0x0
	.long	2886783339                      ; 0xac10d16b
	;; [unrolled: 4-line block ×7, first 2 shown]
	.long	0                               ; 0x0
	.long	0                               ; 0x0
	;; [unrolled: 1-line block ×32, first 2 shown]
	.long	33280                           ; 0x8200
	.long	0                               ; 0x0
	.long	0                               ; 0x0
	;; [unrolled: 1-line block ×3, first 2 shown]
	.long	66560                           ; 0x10400
	.long	0                               ; 0x0
	.long	0                               ; 0x0
	.long	0                               ; 0x0
	.long	133120                          ; 0x20800
	.long	0                               ; 0x0
	.long	0                               ; 0x0
	.long	0                               ; 0x0
	.long	266240                          ; 0x41000
	;; [unrolled: 4-line block ×3, first 2 shown]
	.long	0                               ; 0x0
	.long	0                               ; 0x0
	.long	0                               ; 0x0
	.long	1064960                         ; 0x104000
	.long	0                               ; 0x0
	.long	0                               ; 0x0
	.long	0                               ; 0x0
	.long	2129920                         ; 0x208000
	;; [unrolled: 4-line block ×4, first 2 shown]
	.long	0                               ; 0x0
	.long	0                               ; 0x0
	.long	0                               ; 0x0
	.long	17039364                        ; 0x1040004
	.long	0                               ; 0x0
	.long	0                               ; 0x0
	.long	0                               ; 0x0
	.long	34078729                        ; 0x2080009
	;; [unrolled: 4-line block ×3, first 2 shown]
	.long	0                               ; 0x0
	.long	0                               ; 0x0
	.long	0                               ; 0x0
	.long	136314916                       ; 0x8200024
	.long	0                               ; 0x0
	.long	0                               ; 0x0
	.long	0                               ; 0x0
	.long	272629833                       ; 0x10400049
	;; [unrolled: 4-line block ×3, first 2 shown]
	.long	0                               ; 0x0
	.long	0                               ; 0x0
	;; [unrolled: 1-line block ×3, first 2 shown]
	.long	1090519332                      ; 0x41000124
	.long	0                               ; 0x0
	.long	0                               ; 0x0
	;; [unrolled: 1-line block ×3, first 2 shown]
	.long	2181038665                      ; 0x82000249
	.long	0                               ; 0x0
	.long	0                               ; 0x0
	;; [unrolled: 1-line block ×3, first 2 shown]
	.long	67110034                        ; 0x4000492
	.long	0                               ; 0x0
	.long	0                               ; 0x0
	.long	0                               ; 0x0
	.long	134220068                       ; 0x8000924
	.long	0                               ; 0x0
	.long	0                               ; 0x0
	.long	0                               ; 0x0
	.long	268440136                       ; 0x10001248
	;; [unrolled: 4-line block ×3, first 2 shown]
	.long	0                               ; 0x0
	.long	0                               ; 0x0
	;; [unrolled: 1-line block ×3, first 2 shown]
	.long	1073760544                      ; 0x40004920
	.long	0                               ; 0x0
	.long	0                               ; 0x0
	;; [unrolled: 1-line block ×3, first 2 shown]
	.long	2147487808                      ; 0x80001040
	.long	0                               ; 0x0
	.long	0                               ; 0x0
	;; [unrolled: 1-line block ×3, first 2 shown]
	.long	8320                            ; 0x2080
	.long	0                               ; 0x0
	.long	0                               ; 0x0
	;; [unrolled: 1-line block ×3, first 2 shown]
	.long	16640                           ; 0x4100
	.long	0                               ; 0x0
	.long	0                               ; 0x0
	;; [unrolled: 1-line block ×4, first 2 shown]
	.long	893107048                       ; 0x353bbb68
	.long	0                               ; 0x0
	.long	0                               ; 0x0
	.long	0                               ; 0x0
	.long	1786214097                      ; 0x6a7776d1
	.long	0                               ; 0x0
	.long	0                               ; 0x0
	.long	0                               ; 0x0
	.long	3572428195                      ; 0xd4eeeda3
	;; [unrolled: 4-line block ×27, first 2 shown]
	.long	0                               ; 0x0
	.long	0                               ; 0x0
	;; [unrolled: 1-line block ×3, first 2 shown]
	.long	648509293                       ; 0x26a7776d
	.long	0                               ; 0x0
	.long	0                               ; 0x0
	;; [unrolled: 1-line block ×3, first 2 shown]
	.long	1297018586                      ; 0x4d4eeeda
	.long	0                               ; 0x0
	.long	0                               ; 0x0
	;; [unrolled: 1-line block ×3, first 2 shown]
	.long	2594037172                      ; 0x9a9dddb4
	.long	0                               ; 0x0
	.long	0                               ; 0x0
	;; [unrolled: 1-line block ×16, first 2 shown]
	.long	99817600                        ; 0x5f31880
	.long	0                               ; 0x0
	.long	0                               ; 0x0
	.long	0                               ; 0x0
	.long	199635201                       ; 0xbe63101
	.long	0                               ; 0x0
	.long	0                               ; 0x0
	.long	0                               ; 0x0
	.long	399270402                       ; 0x17cc6202
	;; [unrolled: 4-line block ×3, first 2 shown]
	.long	0                               ; 0x0
	.long	0                               ; 0x0
	.long	0                               ; 0x0
	.long	1597081609                      ; 0x5f318809
	.long	0                               ; 0x0
	.long	0                               ; 0x0
	.long	0                               ; 0x0
	.long	3194163218                      ; 0xbe631012
	.long	0                               ; 0x0
	.long	0                               ; 0x0
	.long	0                               ; 0x0
	.long	2093359140                      ; 0x7cc62024
	.long	0                               ; 0x0
	.long	0                               ; 0x0
	.long	0                               ; 0x0
	.long	4186718280                      ; 0xf98c4048
	.long	0                               ; 0x0
	.long	0                               ; 0x0
	.long	0                               ; 0x0
	.long	4078469265                      ; 0xf3188091
	.long	0                               ; 0x0
	.long	0                               ; 0x0
	.long	0                               ; 0x0
	.long	3861971235                      ; 0xe6310123
	.long	0                               ; 0x0
	.long	0                               ; 0x0
	.long	0                               ; 0x0
	.long	3428975175                      ; 0xcc620247
	.long	0                               ; 0x0
	.long	0                               ; 0x0
	.long	0                               ; 0x0
	.long	2562983055                      ; 0x98c4048f
	.long	0                               ; 0x0
	.long	0                               ; 0x0
	;; [unrolled: 1-line block ×3, first 2 shown]
	.long	830998815                       ; 0x3188091f
	.long	0                               ; 0x0
	.long	0                               ; 0x0
	.long	0                               ; 0x0
	.long	1661997631                      ; 0x6310123f
	.long	0                               ; 0x0
	.long	0                               ; 0x0
	.long	0                               ; 0x0
	.long	3323995262                      ; 0xc620247e
	.long	0                               ; 0x0
	.long	0                               ; 0x0
	.long	0                               ; 0x0
	.long	2353023229                      ; 0x8c4048fd
	.long	0                               ; 0x0
	.long	0                               ; 0x0
	;; [unrolled: 1-line block ×3, first 2 shown]
	.long	411079163                       ; 0x188091fb
	.long	0                               ; 0x0
	.long	0                               ; 0x0
	;; [unrolled: 1-line block ×3, first 2 shown]
	.long	822158327                       ; 0x310123f7
	.long	0                               ; 0x0
	.long	0                               ; 0x0
	.long	0                               ; 0x0
	.long	1644316655                      ; 0x620247ef
	.long	0                               ; 0x0
	.long	0                               ; 0x0
	.long	0                               ; 0x0
	.long	3288633310                      ; 0xc4048fde
	;; [unrolled: 4-line block ×3, first 2 shown]
	.long	0                               ; 0x0
	.long	0                               ; 0x0
	;; [unrolled: 1-line block ×3, first 2 shown]
	.long	269631354                       ; 0x10123f7a
	.long	0                               ; 0x0
	.long	0                               ; 0x0
	;; [unrolled: 1-line block ×3, first 2 shown]
	.long	539262709                       ; 0x20247ef5
	.long	0                               ; 0x0
	.long	0                               ; 0x0
	;; [unrolled: 1-line block ×3, first 2 shown]
	.long	1078525418                      ; 0x4048fdea
	.long	0                               ; 0x0
	.long	0                               ; 0x0
	;; [unrolled: 1-line block ×3, first 2 shown]
	.long	2157050836                      ; 0x8091fbd4
	.long	0                               ; 0x0
	.long	0                               ; 0x0
	.long	0                               ; 0x0
	.long	19134376                        ; 0x123f7a8
	.long	0                               ; 0x0
	.long	0                               ; 0x0
	.long	0                               ; 0x0
	.long	38268752                        ; 0x247ef50
	;; [unrolled: 4-line block ×4, first 2 shown]
	.long	0                               ; 0x0
	.long	0                               ; 0x0
	;; [unrolled: 1-line block ×20, first 2 shown]
	.long	1770227281                      ; 0x69838651
	.long	0                               ; 0x0
	.long	0                               ; 0x0
	.long	0                               ; 0x0
	.long	3540454563                      ; 0xd3070ca3
	.long	0                               ; 0x0
	.long	0                               ; 0x0
	.long	0                               ; 0x0
	;; [unrolled: 4-line block ×5, first 2 shown]
	.long	812698162                       ; 0x3070ca32
	.long	0                               ; 0x0
	.long	0                               ; 0x0
	.long	0                               ; 0x0
	.long	1625396325                      ; 0x60e19465
	.long	0                               ; 0x0
	.long	0                               ; 0x0
	.long	0                               ; 0x0
	.long	3250792650                      ; 0xc1c328ca
	;; [unrolled: 4-line block ×3, first 2 shown]
	.long	0                               ; 0x0
	.long	0                               ; 0x0
	.long	0                               ; 0x0
	.long	118268713                       ; 0x70ca329
	.long	0                               ; 0x0
	.long	0                               ; 0x0
	.long	0                               ; 0x0
	.long	236537426                       ; 0xe194652
	;; [unrolled: 4-line block ×4, first 2 shown]
	.long	0                               ; 0x0
	.long	0                               ; 0x0
	.long	0                               ; 0x0
	.long	1892299411                      ; 0x70ca3293
	.long	0                               ; 0x0
	.long	0                               ; 0x0
	.long	0                               ; 0x0
	.long	3784598822                      ; 0xe1946526
	;; [unrolled: 4-line block ×15, first 2 shown]
	.long	0                               ; 0x0
	.long	0                               ; 0x0
	;; [unrolled: 1-line block ×32, first 2 shown]
	.long	180224                          ; 0x2c000
	.long	0                               ; 0x0
	.long	0                               ; 0x0
	.long	0                               ; 0x0
	.long	360448                          ; 0x58000
	.long	0                               ; 0x0
	.long	0                               ; 0x0
	.long	0                               ; 0x0
	;; [unrolled: 4-line block ×3, first 2 shown]
	.long	1441792                         ; 0x160000
	.long	0                               ; 0x0
	.long	0                               ; 0x0
	.long	0                               ; 0x0
	.long	2883584                         ; 0x2c0000
	.long	0                               ; 0x0
	.long	0                               ; 0x0
	.long	0                               ; 0x0
	;; [unrolled: 4-line block ×3, first 2 shown]
	.long	11534338                        ; 0xb00002
	.long	0                               ; 0x0
	.long	0                               ; 0x0
	.long	0                               ; 0x0
	.long	23068677                        ; 0x1600005
	.long	0                               ; 0x0
	.long	0                               ; 0x0
	.long	0                               ; 0x0
	;; [unrolled: 4-line block ×4, first 2 shown]
	.long	184549417                       ; 0xb000029
	.long	0                               ; 0x0
	.long	0                               ; 0x0
	.long	0                               ; 0x0
	.long	369098835                       ; 0x16000053
	.long	0                               ; 0x0
	.long	0                               ; 0x0
	.long	0                               ; 0x0
	;; [unrolled: 4-line block ×3, first 2 shown]
	.long	1476395340                      ; 0x5800014c
	.long	0                               ; 0x0
	.long	0                               ; 0x0
	.long	0                               ; 0x0
	.long	2952790680                      ; 0xb0000298
	.long	0                               ; 0x0
	.long	0                               ; 0x0
	.long	0                               ; 0x0
	.long	1610614064                      ; 0x60000530
	.long	0                               ; 0x0
	.long	0                               ; 0x0
	.long	0                               ; 0x0
	.long	3221228128                      ; 0xc0000a60
	.long	0                               ; 0x0
	.long	0                               ; 0x0
	.long	0                               ; 0x0
	.long	2147488960                      ; 0x800014c0
	.long	0                               ; 0x0
	.long	0                               ; 0x0
	.long	0                               ; 0x0
	.long	10624                           ; 0x2980
	.long	0                               ; 0x0
	.long	0                               ; 0x0
	.long	0                               ; 0x0
	.long	21248                           ; 0x5300
	.long	0                               ; 0x0
	.long	0                               ; 0x0
	.long	0                               ; 0x0
	;; [unrolled: 4-line block ×7, first 2 shown]
	.long	0                               ; 0x0
	.long	2113541784                      ; 0x7dfa1698
	.long	0                               ; 0x0
	.long	0                               ; 0x0
	.long	0                               ; 0x0
	.long	4227083568                      ; 0xfbf42d30
	.long	0                               ; 0x0
	.long	0                               ; 0x0
	.long	0                               ; 0x0
	.long	4159199840                      ; 0xf7e85a60
	.long	0                               ; 0x0
	.long	0                               ; 0x0
	.long	0                               ; 0x0
	.long	4023432384                      ; 0xefd0b4c0
	.long	0                               ; 0x0
	.long	0                               ; 0x0
	.long	0                               ; 0x0
	.long	3751897472                      ; 0xdfa16980
	.long	0                               ; 0x0
	.long	0                               ; 0x0
	.long	0                               ; 0x0
	.long	3208827648                      ; 0xbf42d300
	.long	0                               ; 0x0
	.long	0                               ; 0x0
	.long	0                               ; 0x0
	.long	2122688001                      ; 0x7e85a601
	.long	0                               ; 0x0
	.long	0                               ; 0x0
	.long	0                               ; 0x0
	.long	4245376003                      ; 0xfd0b4c03
	.long	0                               ; 0x0
	.long	0                               ; 0x0
	.long	0                               ; 0x0
	.long	4195784710                      ; 0xfa169806
	.long	0                               ; 0x0
	.long	0                               ; 0x0
	.long	0                               ; 0x0
	.long	4096602125                      ; 0xf42d300d
	.long	0                               ; 0x0
	.long	0                               ; 0x0
	.long	0                               ; 0x0
	.long	3898236955                      ; 0xe85a601b
	.long	0                               ; 0x0
	.long	0                               ; 0x0
	.long	0                               ; 0x0
	.long	3501506615                      ; 0xd0b4c037
	.long	0                               ; 0x0
	.long	0                               ; 0x0
	.long	0                               ; 0x0
	.long	2708045935                      ; 0xa169806f
	.long	0                               ; 0x0
	.long	0                               ; 0x0
	.long	0                               ; 0x0
	.long	1121124575                      ; 0x42d300df
	.long	0                               ; 0x0
	.long	0                               ; 0x0
	.long	0                               ; 0x0
	.long	2242249151                      ; 0x85a601bf
	.long	0                               ; 0x0
	.long	0                               ; 0x0
	.long	0                               ; 0x0
	.long	189531007                       ; 0xb4c037f
	.long	0                               ; 0x0
	.long	0                               ; 0x0
	.long	0                               ; 0x0
	.long	379062015                       ; 0x169806ff
	.long	0                               ; 0x0
	.long	0                               ; 0x0
	;; [unrolled: 4-line block ×3, first 2 shown]
	.long	0                               ; 0x0
	.long	1516248061                      ; 0x5a601bfd
	.long	0                               ; 0x0
	.long	0                               ; 0x0
	.long	0                               ; 0x0
	.long	3032496123                      ; 0xb4c037fb
	.long	0                               ; 0x0
	.long	0                               ; 0x0
	;; [unrolled: 4-line block ×9, first 2 shown]
	.long	0                               ; 0x0
	.long	937402729                       ; 0x37dfa169
	.long	0                               ; 0x0
	.long	0                               ; 0x0
	.long	0                               ; 0x0
	.long	1874805459                      ; 0x6fbf42d3
	.long	0                               ; 0x0
	.long	0                               ; 0x0
	.long	0                               ; 0x0
	.long	3749610918                      ; 0xdf7e85a6
	;; [unrolled: 4-line block ×3, first 2 shown]
	.long	0                               ; 0x0
	.long	0                               ; 0x0
	.long	0                               ; 0x0
	.long	0                               ; 0x0
	.long	0                               ; 0x0
	.long	0                               ; 0x0
	.long	0                               ; 0x0
	.long	0                               ; 0x0
	.long	0                               ; 0x0
	.long	0                               ; 0x0
	.long	0                               ; 0x0
	.long	0                               ; 0x0
	.long	0                               ; 0x0
	.long	0                               ; 0x0
	.long	0                               ; 0x0
	.long	0                               ; 0x0
	.long	1409835056                      ; 0x54086030
	.long	0                               ; 0x0
	.long	0                               ; 0x0
	.long	0                               ; 0x0
	.long	2819670112                      ; 0xa810c060
	.long	0                               ; 0x0
	.long	0                               ; 0x0
	.long	0                               ; 0x0
	;; [unrolled: 4-line block ×6, first 2 shown]
	.long	35130376                        ; 0x2180c08
	.long	0                               ; 0x0
	.long	0                               ; 0x0
	;; [unrolled: 1-line block ×3, first 2 shown]
	.long	70260752                        ; 0x4301810
	.long	0                               ; 0x0
	.long	0                               ; 0x0
	.long	0                               ; 0x0
	.long	140521505                       ; 0x8603021
	.long	0                               ; 0x0
	.long	0                               ; 0x0
	.long	0                               ; 0x0
	.long	281043010                       ; 0x10c06042
	;; [unrolled: 4-line block ×3, first 2 shown]
	.long	0                               ; 0x0
	.long	0                               ; 0x0
	;; [unrolled: 1-line block ×3, first 2 shown]
	.long	1124172042                      ; 0x4301810a
	.long	0                               ; 0x0
	.long	0                               ; 0x0
	;; [unrolled: 1-line block ×3, first 2 shown]
	.long	2248344084                      ; 0x86030214
	.long	0                               ; 0x0
	.long	0                               ; 0x0
	.long	0                               ; 0x0
	.long	201720873                       ; 0xc060429
	.long	0                               ; 0x0
	.long	0                               ; 0x0
	.long	0                               ; 0x0
	.long	403441747                       ; 0x180c0853
	;; [unrolled: 4-line block ×3, first 2 shown]
	.long	0                               ; 0x0
	.long	0                               ; 0x0
	.long	0                               ; 0x0
	.long	1613766991                      ; 0x6030214f
	.long	0                               ; 0x0
	.long	0                               ; 0x0
	.long	0                               ; 0x0
	.long	3227533982                      ; 0xc060429e
	;; [unrolled: 4-line block ×3, first 2 shown]
	.long	0                               ; 0x0
	.long	0                               ; 0x0
	;; [unrolled: 1-line block ×3, first 2 shown]
	.long	25234040                        ; 0x1810a78
	.long	0                               ; 0x0
	.long	0                               ; 0x0
	;; [unrolled: 1-line block ×3, first 2 shown]
	.long	50468080                        ; 0x30214f0
	.long	0                               ; 0x0
	.long	0                               ; 0x0
	.long	0                               ; 0x0
	.long	100936160                       ; 0x60429e0
	.long	0                               ; 0x0
	.long	0                               ; 0x0
	.long	0                               ; 0x0
	.long	201872321                       ; 0xc0853c1
	.long	0                               ; 0x0
	.long	0                               ; 0x0
	.long	0                               ; 0x0
	.long	403744643                       ; 0x1810a783
	.long	0                               ; 0x0
	.long	0                               ; 0x0
	.long	0                               ; 0x0
	.long	807489287                       ; 0x30214f07
	.long	0                               ; 0x0
	.long	0                               ; 0x0
	.long	0                               ; 0x0
	.long	1614978575                      ; 0x60429e0f
	.long	0                               ; 0x0
	.long	0                               ; 0x0
	.long	0                               ; 0x0
	.long	3229957150                      ; 0xc0853c1e
	;; [unrolled: 4-line block ×4, first 2 shown]
	.long	0                               ; 0x0
	.long	0                               ; 0x0
	;; [unrolled: 1-line block ×20, first 2 shown]
	.long	302254233                       ; 0x12040899
	.long	0                               ; 0x0
	.long	0                               ; 0x0
	;; [unrolled: 1-line block ×3, first 2 shown]
	.long	604508466                       ; 0x24081132
	.long	0                               ; 0x0
	.long	0                               ; 0x0
	;; [unrolled: 1-line block ×3, first 2 shown]
	.long	1209016932                      ; 0x48102264
	.long	0                               ; 0x0
	.long	0                               ; 0x0
	;; [unrolled: 1-line block ×3, first 2 shown]
	.long	2418033865                      ; 0x902044c9
	.long	0                               ; 0x0
	.long	0                               ; 0x0
	;; [unrolled: 1-line block ×3, first 2 shown]
	.long	541100435                       ; 0x20408993
	.long	0                               ; 0x0
	.long	0                               ; 0x0
	;; [unrolled: 1-line block ×3, first 2 shown]
	.long	1082200870                      ; 0x40811326
	.long	0                               ; 0x0
	.long	0                               ; 0x0
	;; [unrolled: 1-line block ×3, first 2 shown]
	.long	2164401740                      ; 0x8102264c
	.long	0                               ; 0x0
	.long	0                               ; 0x0
	;; [unrolled: 1-line block ×3, first 2 shown]
	.long	33836184                        ; 0x2044c98
	.long	0                               ; 0x0
	.long	0                               ; 0x0
	;; [unrolled: 1-line block ×3, first 2 shown]
	.long	67672369                        ; 0x4089931
	.long	0                               ; 0x0
	.long	0                               ; 0x0
	.long	0                               ; 0x0
	.long	135344738                       ; 0x8113262
	.long	0                               ; 0x0
	.long	0                               ; 0x0
	.long	0                               ; 0x0
	.long	270689477                       ; 0x102264c5
	;; [unrolled: 4-line block ×3, first 2 shown]
	.long	0                               ; 0x0
	.long	0                               ; 0x0
	;; [unrolled: 1-line block ×3, first 2 shown]
	.long	1082757911                      ; 0x40899317
	.long	0                               ; 0x0
	.long	0                               ; 0x0
	;; [unrolled: 1-line block ×3, first 2 shown]
	.long	2165515822                      ; 0x8113262e
	.long	0                               ; 0x0
	.long	0                               ; 0x0
	;; [unrolled: 1-line block ×3, first 2 shown]
	.long	36064348                        ; 0x2264c5c
	.long	0                               ; 0x0
	.long	0                               ; 0x0
	;; [unrolled: 1-line block ×3, first 2 shown]
	.long	373854240                       ; 0x16489020
	.long	0                               ; 0x0
	.long	0                               ; 0x0
	;; [unrolled: 1-line block ×3, first 2 shown]
	.long	747708480                       ; 0x2c912040
	.long	0                               ; 0x0
	.long	0                               ; 0x0
	.long	0                               ; 0x0
	.long	1495416961                      ; 0x59224081
	.long	0                               ; 0x0
	.long	0                               ; 0x0
	.long	0                               ; 0x0
	.long	2990833922                      ; 0xb2448102
	;; [unrolled: 4-line block ×5, first 2 shown]
	.long	0                               ; 0x0
	.long	0                               ; 0x0
	;; [unrolled: 1-line block ×3, first 2 shown]
	.long	608702498                       ; 0x24481022
	.long	0                               ; 0x0
	.long	0                               ; 0x0
	;; [unrolled: 1-line block ×3, first 2 shown]
	.long	1217404996                      ; 0x48902044
	.long	0                               ; 0x0
	.long	0                               ; 0x0
	;; [unrolled: 1-line block ×3, first 2 shown]
	.long	2434809993                      ; 0x91204089
	.long	0                               ; 0x0
	.long	0                               ; 0x0
	;; [unrolled: 1-line block ×3, first 2 shown]
	.long	574652691                       ; 0x22408113
	.long	0                               ; 0x0
	.long	0                               ; 0x0
	;; [unrolled: 1-line block ×3, first 2 shown]
	.long	1149305382                      ; 0x44810226
	.long	0                               ; 0x0
	.long	0                               ; 0x0
	;; [unrolled: 1-line block ×3, first 2 shown]
	.long	2298610764                      ; 0x8902044c
	.long	0                               ; 0x0
	.long	0                               ; 0x0
	;; [unrolled: 1-line block ×32, first 2 shown]
	.long	37905416                        ; 0x2426408
	.long	0                               ; 0x0
	.long	0                               ; 0x0
	;; [unrolled: 1-line block ×3, first 2 shown]
	.long	75810832                        ; 0x484c810
	.long	0                               ; 0x0
	.long	0                               ; 0x0
	.long	0                               ; 0x0
	.long	151621664                       ; 0x9099020
	.long	0                               ; 0x0
	.long	0                               ; 0x0
	.long	0                               ; 0x0
	.long	303243329                       ; 0x12132041
	;; [unrolled: 4-line block ×3, first 2 shown]
	.long	0                               ; 0x0
	.long	0                               ; 0x0
	;; [unrolled: 1-line block ×3, first 2 shown]
	.long	1212973317                      ; 0x484c8105
	.long	0                               ; 0x0
	.long	0                               ; 0x0
	;; [unrolled: 1-line block ×3, first 2 shown]
	.long	2425946634                      ; 0x9099020a
	.long	0                               ; 0x0
	.long	0                               ; 0x0
	;; [unrolled: 1-line block ×3, first 2 shown]
	.long	556925972                       ; 0x21320414
	.long	0                               ; 0x0
	.long	0                               ; 0x0
	;; [unrolled: 1-line block ×3, first 2 shown]
	.long	1113851944                      ; 0x42640828
	.long	0                               ; 0x0
	.long	0                               ; 0x0
	;; [unrolled: 1-line block ×3, first 2 shown]
	.long	2227703889                      ; 0x84c81051
	.long	0                               ; 0x0
	.long	0                               ; 0x0
	.long	0                               ; 0x0
	.long	160440482                       ; 0x99020a2
	.long	0                               ; 0x0
	.long	0                               ; 0x0
	.long	0                               ; 0x0
	.long	320880965                       ; 0x13204145
	;; [unrolled: 4-line block ×3, first 2 shown]
	.long	0                               ; 0x0
	.long	0                               ; 0x0
	;; [unrolled: 1-line block ×3, first 2 shown]
	.long	1283523860                      ; 0x4c810514
	.long	0                               ; 0x0
	.long	0                               ; 0x0
	;; [unrolled: 1-line block ×3, first 2 shown]
	.long	2567047720                      ; 0x99020a28
	.long	0                               ; 0x0
	.long	0                               ; 0x0
	;; [unrolled: 1-line block ×3, first 2 shown]
	.long	839128145                       ; 0x32041451
	.long	0                               ; 0x0
	.long	0                               ; 0x0
	.long	0                               ; 0x0
	.long	1678256290                      ; 0x640828a2
	.long	0                               ; 0x0
	.long	0                               ; 0x0
	.long	0                               ; 0x0
	.long	3356512580                      ; 0xc8105144
	;; [unrolled: 4-line block ×3, first 2 shown]
	.long	0                               ; 0x0
	.long	0                               ; 0x0
	;; [unrolled: 1-line block ×3, first 2 shown]
	.long	541148433                       ; 0x20414511
	.long	0                               ; 0x0
	.long	0                               ; 0x0
	;; [unrolled: 1-line block ×3, first 2 shown]
	.long	1082296866                      ; 0x40828a22
	.long	0                               ; 0x0
	.long	0                               ; 0x0
	;; [unrolled: 1-line block ×3, first 2 shown]
	.long	2164593732                      ; 0x81051444
	.long	0                               ; 0x0
	.long	0                               ; 0x0
	;; [unrolled: 1-line block ×3, first 2 shown]
	.long	4738177                         ; 0x484c81
	.long	0                               ; 0x0
	.long	0                               ; 0x0
	;; [unrolled: 1-line block ×3, first 2 shown]
	.long	9476354                         ; 0x909902
	.long	0                               ; 0x0
	.long	0                               ; 0x0
	;; [unrolled: 1-line block ×3, first 2 shown]
	.long	18952708                        ; 0x1213204
	.long	0                               ; 0x0
	.long	0                               ; 0x0
	;; [unrolled: 1-line block ×4, first 2 shown]
	.long	307855197                       ; 0x12597f5d
	.long	0                               ; 0x0
	.long	0                               ; 0x0
	.long	0                               ; 0x0
	.long	615710394                       ; 0x24b2feba
	.long	0                               ; 0x0
	.long	0                               ; 0x0
	.long	0                               ; 0x0
	.long	1231420788                      ; 0x4965fd74
	.long	0                               ; 0x0
	.long	0                               ; 0x0
	.long	0                               ; 0x0
	.long	2462841576                      ; 0x92cbfae8
	.long	0                               ; 0x0
	.long	0                               ; 0x0
	.long	0                               ; 0x0
	.long	630715856                       ; 0x2597f5d0
	.long	0                               ; 0x0
	.long	0                               ; 0x0
	.long	0                               ; 0x0
	.long	1261431713                      ; 0x4b2feba1
	.long	0                               ; 0x0
	.long	0                               ; 0x0
	.long	0                               ; 0x0
	.long	2522863426                      ; 0x965fd742
	;; [unrolled: 12-line block ×3, first 2 shown]
	.long	0                               ; 0x0
	.long	0                               ; 0x0
	.long	0                               ; 0x0
	.long	1711109152                      ; 0x65fd7420
	.long	0                               ; 0x0
	.long	0                               ; 0x0
	.long	0                               ; 0x0
	.long	3422218304                      ; 0xcbfae840
	;; [unrolled: 4-line block ×3, first 2 shown]
	.long	0                               ; 0x0
	.long	0                               ; 0x0
	;; [unrolled: 1-line block ×3, first 2 shown]
	.long	803971329                       ; 0x2feba101
	.long	0                               ; 0x0
	.long	0                               ; 0x0
	.long	0                               ; 0x0
	.long	1607942659                      ; 0x5fd74203
	.long	0                               ; 0x0
	.long	0                               ; 0x0
	.long	0                               ; 0x0
	.long	3215885318                      ; 0xbfae8406
	.long	0                               ; 0x0
	.long	0                               ; 0x0
	.long	0                               ; 0x0
	.long	2136803341                      ; 0x7f5d080d
	.long	0                               ; 0x0
	.long	0                               ; 0x0
	.long	0                               ; 0x0
	.long	4273606682                      ; 0xfeba101a
	.long	0                               ; 0x0
	.long	0                               ; 0x0
	.long	0                               ; 0x0
	.long	4252246069                      ; 0xfd742035
	.long	0                               ; 0x0
	.long	0                               ; 0x0
	.long	0                               ; 0x0
	.long	4209524842                      ; 0xfae8406a
	.long	0                               ; 0x0
	.long	0                               ; 0x0
	.long	0                               ; 0x0
	.long	4124082389                      ; 0xf5d080d5
	.long	0                               ; 0x0
	.long	0                               ; 0x0
	.long	0                               ; 0x0
	.long	3953197482                      ; 0xeba101aa
	.long	0                               ; 0x0
	.long	0                               ; 0x0
	.long	0                               ; 0x0
	.long	3611427668                      ; 0xd7420354
	.long	0                               ; 0x0
	.long	0                               ; 0x0
	.long	0                               ; 0x0
	.long	2927888040                      ; 0xae8406a8
	.long	0                               ; 0x0
	.long	0                               ; 0x0
	.long	0                               ; 0x0
	.long	1560808784                      ; 0x5d080d50
	.long	0                               ; 0x0
	.long	0                               ; 0x0
	.long	0                               ; 0x0
	.long	2823382525                      ; 0xa84965fd
	.long	0                               ; 0x0
	.long	0                               ; 0x0
	.long	0                               ; 0x0
	.long	1351797754                      ; 0x5092cbfa
	.long	0                               ; 0x0
	.long	0                               ; 0x0
	.long	0                               ; 0x0
	.long	2703595509                      ; 0xa12597f5
	.long	0                               ; 0x0
	.long	0                               ; 0x0
	.long	0                               ; 0x0
	.long	1112223723                      ; 0x424b2feb
	.long	0                               ; 0x0
	.long	0                               ; 0x0
	.long	0                               ; 0x0
	.long	2224447447                      ; 0x84965fd7
	.long	0                               ; 0x0
	.long	0                               ; 0x0
	;; [unrolled: 1-line block ×3, first 2 shown]
	.long	153927598                       ; 0x92cbfae
	.long	0                               ; 0x0
	.long	0                               ; 0x0
	;; [unrolled: 1-line block ×16, first 2 shown]
	.long	1430273920                      ; 0x55403f80
	.long	0                               ; 0x0
	.long	0                               ; 0x0
	.long	0                               ; 0x0
	.long	2860547840                      ; 0xaa807f00
	.long	0                               ; 0x0
	.long	0                               ; 0x0
	.long	0                               ; 0x0
	;; [unrolled: 4-line block ×10, first 2 shown]
	.long	16646152                        ; 0xfe0008
	.long	0                               ; 0x0
	.long	0                               ; 0x0
	.long	0                               ; 0x0
	.long	33292304                        ; 0x1fc0010
	.long	0                               ; 0x0
	.long	0                               ; 0x0
	.long	0                               ; 0x0
	;; [unrolled: 4-line block ×3, first 2 shown]
	.long	133169216                       ; 0x7f00040
	.long	0                               ; 0x0
	.long	0                               ; 0x0
	.long	0                               ; 0x0
	.long	266338433                       ; 0xfe00081
	.long	0                               ; 0x0
	.long	0                               ; 0x0
	.long	0                               ; 0x0
	;; [unrolled: 4-line block ×3, first 2 shown]
	.long	1065353734                      ; 0x3f800206
	.long	0                               ; 0x0
	.long	0                               ; 0x0
	.long	0                               ; 0x0
	.long	2130707468                      ; 0x7f00040c
	.long	0                               ; 0x0
	.long	0                               ; 0x0
	.long	0                               ; 0x0
	;; [unrolled: 4-line block ×9, first 2 shown]
	.long	265240                          ; 0x40c18
	.long	0                               ; 0x0
	.long	0                               ; 0x0
	;; [unrolled: 1-line block ×3, first 2 shown]
	.long	530480                          ; 0x81830
	.long	0                               ; 0x0
	.long	0                               ; 0x0
	;; [unrolled: 1-line block ×3, first 2 shown]
	.long	1431310304                      ; 0x55500fe0
	.long	0                               ; 0x0
	.long	0                               ; 0x0
	;; [unrolled: 1-line block ×3, first 2 shown]
	.long	2862620608                      ; 0xaaa01fc0
	.long	0                               ; 0x0
	.long	0                               ; 0x0
	;; [unrolled: 1-line block ×20, first 2 shown]
	.long	536903683                       ; 0x20008003
	.long	0                               ; 0x0
	.long	0                               ; 0x0
	;; [unrolled: 1-line block ×3, first 2 shown]
	.long	1073807366                      ; 0x40010006
	.long	0                               ; 0x0
	.long	0                               ; 0x0
	;; [unrolled: 1-line block ×3, first 2 shown]
	.long	2147614732                      ; 0x8002000c
	.long	0                               ; 0x0
	.long	0                               ; 0x0
	;; [unrolled: 1-line block ×3, first 2 shown]
	.long	262168                          ; 0x40018
	.long	0                               ; 0x0
	.long	0                               ; 0x0
	;; [unrolled: 1-line block ×3, first 2 shown]
	.long	524336                          ; 0x80030
	.long	0                               ; 0x0
	.long	0                               ; 0x0
	.long	0                               ; 0x0
	.long	1048672                         ; 0x100060
	.long	0                               ; 0x0
	.long	0                               ; 0x0
	.long	0                               ; 0x0
	.long	2097344                         ; 0x2000c0
	;; [unrolled: 4-line block ×4, first 2 shown]
	.long	0                               ; 0x0
	.long	0                               ; 0x0
	.long	0                               ; 0x0
	.long	16778752                        ; 0x1000600
	.long	0                               ; 0x0
	.long	0                               ; 0x0
	.long	0                               ; 0x0
	.long	33557504                        ; 0x2000c00
	;; [unrolled: 4-line block ×3, first 2 shown]
	.long	0                               ; 0x0
	.long	0                               ; 0x0
	.long	0                               ; 0x0
	.long	134230016                       ; 0x8003000
	.long	0                               ; 0x0
	.long	0                               ; 0x0
	.long	0                               ; 0x0
	.long	268460033                       ; 0x10006001
	;; [unrolled: 4-line block ×3, first 2 shown]
	.long	0                               ; 0x0
	.long	0                               ; 0x0
	.long	0                               ; 0x0
	.long	1610678276                      ; 0x60010004
	.long	0                               ; 0x0
	.long	0                               ; 0x0
	.long	0                               ; 0x0
	.long	3221356552                      ; 0xc0020008
	;; [unrolled: 4-line block ×3, first 2 shown]
	.long	0                               ; 0x0
	.long	0                               ; 0x0
	;; [unrolled: 1-line block ×3, first 2 shown]
	.long	524320                          ; 0x80020
	.long	0                               ; 0x0
	.long	0                               ; 0x0
	.long	0                               ; 0x0
	.long	1048640                         ; 0x100040
	.long	0                               ; 0x0
	.long	0                               ; 0x0
	.long	0                               ; 0x0
	.long	2097280                         ; 0x200080
	;; [unrolled: 4-line block ×4, first 2 shown]
	.long	0                               ; 0x0
	.long	0                               ; 0x0
	.long	0                               ; 0x0
	.long	16778240                        ; 0x1000400
	.long	0                               ; 0x0
	.long	0                               ; 0x0
	.long	0                               ; 0x0
	.long	33556480                        ; 0x2000800
	;; [unrolled: 4-line block ×3, first 2 shown]
	.long	0                               ; 0x0
	.long	0                               ; 0x0
	;; [unrolled: 1-line block ×3, first 2 shown]
	.long	134225920                       ; 0x8002000
	.long	0                               ; 0x0
	.long	0                               ; 0x0
	;; [unrolled: 1-line block ×3, first 2 shown]
	.long	268451841                       ; 0x10004001
	.long	0                               ; 0x0
	.long	0                               ; 0x0
	;; [unrolled: 1-line block ×32, first 2 shown]
	.long	2731147994                      ; 0xa2ca02da
	.long	0                               ; 0x0
	.long	0                               ; 0x0
	.long	0                               ; 0x0
	.long	1167328692                      ; 0x459405b4
	.long	0                               ; 0x0
	.long	0                               ; 0x0
	.long	0                               ; 0x0
	;; [unrolled: 4-line block ×3, first 2 shown]
	.long	374347474                       ; 0x165016d2
	.long	0                               ; 0x0
	.long	0                               ; 0x0
	;; [unrolled: 1-line block ×3, first 2 shown]
	.long	748694948                       ; 0x2ca02da4
	.long	0                               ; 0x0
	.long	0                               ; 0x0
	.long	0                               ; 0x0
	.long	1497389897                      ; 0x59405b49
	.long	0                               ; 0x0
	.long	0                               ; 0x0
	.long	0                               ; 0x0
	.long	2994779795                      ; 0xb280b693
	;; [unrolled: 4-line block ×5, first 2 shown]
	.long	0                               ; 0x0
	.long	0                               ; 0x0
	;; [unrolled: 1-line block ×3, first 2 shown]
	.long	671836468                       ; 0x280b6934
	.long	0                               ; 0x0
	.long	0                               ; 0x0
	.long	0                               ; 0x0
	.long	1343672936                      ; 0x5016d268
	.long	0                               ; 0x0
	.long	0                               ; 0x0
	.long	0                               ; 0x0
	.long	2687345872                      ; 0xa02da4d0
	;; [unrolled: 4-line block ×4, first 2 shown]
	.long	0                               ; 0x0
	.long	0                               ; 0x0
	.long	0                               ; 0x0
	.long	23930501                        ; 0x16d2685
	.long	0                               ; 0x0
	.long	0                               ; 0x0
	.long	0                               ; 0x0
	.long	47861002                        ; 0x2da4d0a
	;; [unrolled: 4-line block ×3, first 2 shown]
	.long	0                               ; 0x0
	.long	0                               ; 0x0
	.long	0                               ; 0x0
	.long	191444008                       ; 0xb693428
	.long	0                               ; 0x0
	.long	0                               ; 0x0
	.long	0                               ; 0x0
	.long	382888016                       ; 0x16d26850
	;; [unrolled: 4-line block ×3, first 2 shown]
	.long	0                               ; 0x0
	.long	0                               ; 0x0
	;; [unrolled: 1-line block ×3, first 2 shown]
	.long	1531552064                      ; 0x5b49a140
	.long	0                               ; 0x0
	.long	0                               ; 0x0
	;; [unrolled: 1-line block ×3, first 2 shown]
	.long	341393499                       ; 0x1459405b
	.long	0                               ; 0x0
	.long	0                               ; 0x0
	;; [unrolled: 1-line block ×3, first 2 shown]
	.long	682786998                       ; 0x28b280b6
	.long	0                               ; 0x0
	.long	0                               ; 0x0
	;; [unrolled: 1-line block ×3, first 2 shown]
	.long	1365573997                      ; 0x5165016d
	.long	0                               ; 0x0
	.long	0                               ; 0x0
	;; [unrolled: 1-line block ×4, first 2 shown]
	.long	1769338744                      ; 0x6975f778
	.long	0                               ; 0x0
	.long	0                               ; 0x0
	.long	0                               ; 0x0
	.long	3538677488                      ; 0xd2ebeef0
	.long	0                               ; 0x0
	.long	0                               ; 0x0
	.long	0                               ; 0x0
	;; [unrolled: 4-line block ×5, first 2 shown]
	.long	784264973                       ; 0x2ebeef0d
	.long	0                               ; 0x0
	.long	0                               ; 0x0
	.long	0                               ; 0x0
	.long	1568529946                      ; 0x5d7dde1a
	.long	0                               ; 0x0
	.long	0                               ; 0x0
	.long	0                               ; 0x0
	.long	3137059892                      ; 0xbafbbc34
	;; [unrolled: 4-line block ×20, first 2 shown]
	.long	0                               ; 0x0
	.long	0                               ; 0x0
	;; [unrolled: 1-line block ×3, first 2 shown]
	.long	860598203                       ; 0x334bafbb
	.long	0                               ; 0x0
	.long	0                               ; 0x0
	.long	0                               ; 0x0
	.long	1721196407                      ; 0x66975f77
	.long	0                               ; 0x0
	.long	0                               ; 0x0
	.long	0                               ; 0x0
	.long	3442392815                      ; 0xcd2ebeef
	;; [unrolled: 4-line block ×3, first 2 shown]
	.long	0                               ; 0x0
	.long	0                               ; 0x0
	;; [unrolled: 1-line block ×3, first 2 shown]
	.long	884669372                       ; 0x34bafbbc
	.long	0                               ; 0x0
	.long	0                               ; 0x0
	;; [unrolled: 1-line block ×16, first 2 shown]
	.long	4294705152                      ; 0xfffc0000
	.long	0                               ; 0x0
	.long	0                               ; 0x0
	.long	0                               ; 0x0
	.long	4294443008                      ; 0xfff80000
	.long	0                               ; 0x0
	.long	0                               ; 0x0
	.long	0                               ; 0x0
	;; [unrolled: 4-line block ×14, first 2 shown]
	.long	24                              ; 0x18
	.long	0                               ; 0x0
	.long	0                               ; 0x0
	.long	0                               ; 0x0
	.long	48                              ; 0x30
	.long	0                               ; 0x0
	.long	0                               ; 0x0
	.long	0                               ; 0x0
	;; [unrolled: 4-line block ×3, first 2 shown]
	.long	192                             ; 0xc0
	.long	0                               ; 0x0
	.long	0                               ; 0x0
	.long	0                               ; 0x0
	.long	384                             ; 0x180
	.long	0                               ; 0x0
	.long	0                               ; 0x0
	.long	0                               ; 0x0
	;; [unrolled: 4-line block ×3, first 2 shown]
	.long	1536                            ; 0x600
	.long	0                               ; 0x0
	.long	0                               ; 0x0
	.long	0                               ; 0x0
	.long	3072                            ; 0xc00
	.long	0                               ; 0x0
	.long	0                               ; 0x0
	.long	0                               ; 0x0
	;; [unrolled: 4-line block ×3, first 2 shown]
	.long	12288                           ; 0x3000
	.long	0                               ; 0x0
	.long	0                               ; 0x0
	.long	0                               ; 0x0
	.long	24576                           ; 0x6000
	.long	0                               ; 0x0
	.long	0                               ; 0x0
	.long	0                               ; 0x0
	;; [unrolled: 4-line block ×4, first 2 shown]
	.long	4294901760                      ; 0xffff0000
	.long	0                               ; 0x0
	.long	0                               ; 0x0
	.long	0                               ; 0x0
	.long	4294836224                      ; 0xfffe0000
	.long	0                               ; 0x0
	.long	0                               ; 0x0
	;; [unrolled: 1-line block ×20, first 2 shown]
	.long	262152                          ; 0x40008
	.long	0                               ; 0x0
	.long	0                               ; 0x0
	;; [unrolled: 1-line block ×3, first 2 shown]
	.long	524304                          ; 0x80010
	.long	0                               ; 0x0
	.long	0                               ; 0x0
	.long	0                               ; 0x0
	.long	1048608                         ; 0x100020
	.long	0                               ; 0x0
	.long	0                               ; 0x0
	.long	0                               ; 0x0
	.long	2097216                         ; 0x200040
	;; [unrolled: 4-line block ×4, first 2 shown]
	.long	0                               ; 0x0
	.long	0                               ; 0x0
	.long	0                               ; 0x0
	.long	16777728                        ; 0x1000200
	.long	0                               ; 0x0
	.long	0                               ; 0x0
	.long	0                               ; 0x0
	.long	33555456                        ; 0x2000400
	.long	0                               ; 0x0
	.long	0                               ; 0x0
	.long	0                               ; 0x0
	.long	67110912                        ; 0x4000800
	.long	0                               ; 0x0
	.long	0                               ; 0x0
	.long	0                               ; 0x0
	.long	134221824                       ; 0x8001000
	.long	0                               ; 0x0
	.long	0                               ; 0x0
	.long	0                               ; 0x0
	.long	268443649                       ; 0x10002001
	;; [unrolled: 4-line block ×3, first 2 shown]
	.long	0                               ; 0x0
	.long	0                               ; 0x0
	;; [unrolled: 1-line block ×3, first 2 shown]
	.long	1073774597                      ; 0x40008005
	.long	0                               ; 0x0
	.long	0                               ; 0x0
	;; [unrolled: 1-line block ×3, first 2 shown]
	.long	2147549194                      ; 0x8001000a
	.long	0                               ; 0x0
	.long	0                               ; 0x0
	;; [unrolled: 1-line block ×3, first 2 shown]
	.long	131092                          ; 0x20014
	.long	0                               ; 0x0
	.long	0                               ; 0x0
	;; [unrolled: 1-line block ×3, first 2 shown]
	.long	32                              ; 0x20
	.long	0                               ; 0x0
	.long	0                               ; 0x0
	;; [unrolled: 1-line block ×3, first 2 shown]
	.long	64                              ; 0x40
	.long	0                               ; 0x0
	.long	0                               ; 0x0
	.long	0                               ; 0x0
	.long	128                             ; 0x80
	.long	0                               ; 0x0
	.long	0                               ; 0x0
	.long	0                               ; 0x0
	.long	256                             ; 0x100
	;; [unrolled: 4-line block ×3, first 2 shown]
	.long	0                               ; 0x0
	.long	0                               ; 0x0
	.long	0                               ; 0x0
	.long	1024                            ; 0x400
	.long	0                               ; 0x0
	.long	0                               ; 0x0
	.long	0                               ; 0x0
	.long	2048                            ; 0x800
	;; [unrolled: 4-line block ×4, first 2 shown]
	.long	0                               ; 0x0
	.long	0                               ; 0x0
	.long	0                               ; 0x0
	.long	16384                           ; 0x4000
	.long	0                               ; 0x0
	.long	0                               ; 0x0
	.long	0                               ; 0x0
	.long	32769                           ; 0x8001
	;; [unrolled: 4-line block ×3, first 2 shown]
	.long	0                               ; 0x0
	.long	0                               ; 0x0
	;; [unrolled: 1-line block ×3, first 2 shown]
	.long	131076                          ; 0x20004
	.long	0                               ; 0x0
	.long	0                               ; 0x0
	;; [unrolled: 1-line block ×32, first 2 shown]
	.long	3732057110                      ; 0xde72ac16
	.long	0                               ; 0x0
	.long	0                               ; 0x0
	.long	0                               ; 0x0
	.long	3169146925                      ; 0xbce5582d
	.long	0                               ; 0x0
	.long	0                               ; 0x0
	.long	0                               ; 0x0
	;; [unrolled: 4-line block ×7, first 2 shown]
	.long	961940345                       ; 0x39560b79
	.long	0                               ; 0x0
	.long	0                               ; 0x0
	.long	0                               ; 0x0
	.long	1923880691                      ; 0x72ac16f3
	.long	0                               ; 0x0
	.long	0                               ; 0x0
	.long	0                               ; 0x0
	.long	3847761383                      ; 0xe5582de7
	;; [unrolled: 4-line block ×4, first 2 shown]
	.long	0                               ; 0x0
	.long	0                               ; 0x0
	;; [unrolled: 1-line block ×3, first 2 shown]
	.long	717319998                       ; 0x2ac16f3e
	.long	0                               ; 0x0
	.long	0                               ; 0x0
	.long	0                               ; 0x0
	.long	1434639996                      ; 0x5582de7c
	.long	0                               ; 0x0
	.long	0                               ; 0x0
	.long	0                               ; 0x0
	.long	2869279993                      ; 0xab05bcf9
	;; [unrolled: 4-line block ×12, first 2 shown]
	.long	0                               ; 0x0
	.long	0                               ; 0x0
	;; [unrolled: 1-line block ×4, first 2 shown]
	.long	2045181768                      ; 0x79e6ff48
	.long	0                               ; 0x0
	.long	0                               ; 0x0
	.long	0                               ; 0x0
	.long	4090363536                      ; 0xf3cdfe90
	.long	0                               ; 0x0
	.long	0                               ; 0x0
	.long	0                               ; 0x0
	;; [unrolled: 4-line block ×11, first 2 shown]
	.long	939147269                       ; 0x37fa4005
	.long	0                               ; 0x0
	.long	0                               ; 0x0
	.long	0                               ; 0x0
	.long	1878294539                      ; 0x6ff4800b
	.long	0                               ; 0x0
	.long	0                               ; 0x0
	.long	0                               ; 0x0
	.long	3756589078                      ; 0xdfe90016
	;; [unrolled: 4-line block ×19, first 2 shown]
	.long	0                               ; 0x0
	.long	0                               ; 0x0
	;; [unrolled: 1-line block ×16, first 2 shown]
	.long	32                              ; 0x20
	.long	0                               ; 0x0
	.long	0                               ; 0x0
	;; [unrolled: 1-line block ×3, first 2 shown]
	.long	64                              ; 0x40
	.long	0                               ; 0x0
	.long	0                               ; 0x0
	.long	0                               ; 0x0
	.long	128                             ; 0x80
	.long	0                               ; 0x0
	.long	0                               ; 0x0
	.long	0                               ; 0x0
	.long	256                             ; 0x100
	;; [unrolled: 4-line block ×3, first 2 shown]
	.long	0                               ; 0x0
	.long	0                               ; 0x0
	.long	0                               ; 0x0
	.long	1024                            ; 0x400
	.long	0                               ; 0x0
	.long	0                               ; 0x0
	.long	0                               ; 0x0
	.long	2048                            ; 0x800
	;; [unrolled: 4-line block ×4, first 2 shown]
	.long	0                               ; 0x0
	.long	0                               ; 0x0
	.long	0                               ; 0x0
	.long	16384                           ; 0x4000
	.long	0                               ; 0x0
	.long	0                               ; 0x0
	.long	0                               ; 0x0
	.long	32768                           ; 0x8000
	;; [unrolled: 4-line block ×3, first 2 shown]
	.long	0                               ; 0x0
	.long	0                               ; 0x0
	.long	0                               ; 0x0
	.long	131072                          ; 0x20000
	.long	0                               ; 0x0
	.long	0                               ; 0x0
	.long	0                               ; 0x0
	.long	262144                          ; 0x40000
	;; [unrolled: 4-line block ×3, first 2 shown]
	.long	0                               ; 0x0
	.long	0                               ; 0x0
	.long	0                               ; 0x0
	.long	1048576                         ; 0x100000
	.long	0                               ; 0x0
	.long	0                               ; 0x0
	.long	0                               ; 0x0
	.long	2097152                         ; 0x200000
	;; [unrolled: 4-line block ×4, first 2 shown]
	.long	0                               ; 0x0
	.long	0                               ; 0x0
	.long	0                               ; 0x0
	.long	16777216                        ; 0x1000000
	.long	0                               ; 0x0
	.long	0                               ; 0x0
	.long	0                               ; 0x0
	.long	33554432                        ; 0x2000000
	;; [unrolled: 4-line block ×3, first 2 shown]
	.long	0                               ; 0x0
	.long	0                               ; 0x0
	.long	0                               ; 0x0
	.long	134217729                       ; 0x8000001
	.long	0                               ; 0x0
	.long	0                               ; 0x0
	.long	0                               ; 0x0
	.long	268435458                       ; 0x10000002
	;; [unrolled: 4-line block ×3, first 2 shown]
	.long	0                               ; 0x0
	.long	0                               ; 0x0
	;; [unrolled: 1-line block ×3, first 2 shown]
	.long	1073741834                      ; 0x4000000a
	.long	0                               ; 0x0
	.long	0                               ; 0x0
	;; [unrolled: 1-line block ×3, first 2 shown]
	.long	2147483668                      ; 0x80000014
	.long	0                               ; 0x0
	.long	0                               ; 0x0
	;; [unrolled: 1-line block ×7, first 2 shown]
	.long	16                              ; 0x10
	.long	0                               ; 0x0
	.long	0                               ; 0x0
	;; [unrolled: 1-line block ×20, first 2 shown]
	.long	1073774613                      ; 0x40008015
	.long	0                               ; 0x0
	.long	0                               ; 0x0
	;; [unrolled: 1-line block ×3, first 2 shown]
	.long	2147549226                      ; 0x8001002a
	.long	0                               ; 0x0
	.long	0                               ; 0x0
	.long	0                               ; 0x0
	.long	131156                          ; 0x20054
	.long	0                               ; 0x0
	.long	0                               ; 0x0
	.long	0                               ; 0x0
	.long	262312                          ; 0x400a8
	;; [unrolled: 4-line block ×3, first 2 shown]
	.long	0                               ; 0x0
	.long	0                               ; 0x0
	.long	0                               ; 0x0
	.long	1049248                         ; 0x1002a0
	.long	0                               ; 0x0
	.long	0                               ; 0x0
	.long	0                               ; 0x0
	.long	2098496                         ; 0x200540
	;; [unrolled: 4-line block ×4, first 2 shown]
	.long	0                               ; 0x0
	.long	0                               ; 0x0
	.long	0                               ; 0x0
	.long	16787968                        ; 0x1002a00
	.long	0                               ; 0x0
	.long	0                               ; 0x0
	.long	0                               ; 0x0
	.long	33575936                        ; 0x2005400
	.long	0                               ; 0x0
	.long	0                               ; 0x0
	.long	0                               ; 0x0
	.long	67151873                        ; 0x400a801
	.long	0                               ; 0x0
	.long	0                               ; 0x0
	.long	0                               ; 0x0
	.long	134303746                       ; 0x8015002
	.long	0                               ; 0x0
	.long	0                               ; 0x0
	.long	0                               ; 0x0
	.long	268607492                       ; 0x1002a004
	;; [unrolled: 4-line block ×3, first 2 shown]
	.long	0                               ; 0x0
	.long	0                               ; 0x0
	;; [unrolled: 1-line block ×3, first 2 shown]
	.long	655364                          ; 0xa0004
	.long	0                               ; 0x0
	.long	0                               ; 0x0
	.long	0                               ; 0x0
	.long	1310728                         ; 0x140008
	.long	0                               ; 0x0
	.long	0                               ; 0x0
	.long	0                               ; 0x0
	.long	2621456                         ; 0x280010
	;; [unrolled: 4-line block ×3, first 2 shown]
	.long	0                               ; 0x0
	.long	0                               ; 0x0
	.long	0                               ; 0x0
	.long	10485824                        ; 0xa00040
	.long	0                               ; 0x0
	.long	0                               ; 0x0
	.long	0                               ; 0x0
	.long	20971648                        ; 0x1400080
	;; [unrolled: 4-line block ×4, first 2 shown]
	.long	0                               ; 0x0
	.long	0                               ; 0x0
	.long	0                               ; 0x0
	.long	167773184                       ; 0xa000400
	.long	0                               ; 0x0
	.long	0                               ; 0x0
	.long	0                               ; 0x0
	.long	335546369                       ; 0x14000801
	;; [unrolled: 4-line block ×3, first 2 shown]
	.long	0                               ; 0x0
	.long	0                               ; 0x0
	;; [unrolled: 1-line block ×3, first 2 shown]
	.long	1342185477                      ; 0x50002005
	.long	0                               ; 0x0
	.long	0                               ; 0x0
	;; [unrolled: 1-line block ×3, first 2 shown]
	.long	2684370954                      ; 0xa000400a
	.long	0                               ; 0x0
	.long	0                               ; 0x0
	;; [unrolled: 1-line block ×32, first 2 shown]
	.long	2033130968                      ; 0x792f1dd8
	.long	0                               ; 0x0
	.long	0                               ; 0x0
	.long	0                               ; 0x0
	.long	4066261936                      ; 0xf25e3bb0
	.long	0                               ; 0x0
	.long	0                               ; 0x0
	.long	0                               ; 0x0
	;; [unrolled: 4-line block ×5, first 2 shown]
	.long	635681541                       ; 0x25e3bb05
	.long	0                               ; 0x0
	.long	0                               ; 0x0
	;; [unrolled: 1-line block ×3, first 2 shown]
	.long	1271363082                      ; 0x4bc7760a
	.long	0                               ; 0x0
	.long	0                               ; 0x0
	;; [unrolled: 1-line block ×3, first 2 shown]
	.long	2542726165                      ; 0x978eec15
	.long	0                               ; 0x0
	.long	0                               ; 0x0
	;; [unrolled: 1-line block ×3, first 2 shown]
	.long	790485035                       ; 0x2f1dd82b
	.long	0                               ; 0x0
	.long	0                               ; 0x0
	.long	0                               ; 0x0
	.long	1580970071                      ; 0x5e3bb057
	.long	0                               ; 0x0
	.long	0                               ; 0x0
	.long	0                               ; 0x0
	.long	3161940143                      ; 0xbc7760af
	;; [unrolled: 4-line block ×7, first 2 shown]
	.long	0                               ; 0x0
	.long	0                               ; 0x0
	;; [unrolled: 1-line block ×3, first 2 shown]
	.long	500706297                       ; 0x1dd82bf9
	.long	0                               ; 0x0
	.long	0                               ; 0x0
	.long	0                               ; 0x0
	.long	1001412595                      ; 0x3bb057f3
	.long	0                               ; 0x0
	.long	0                               ; 0x0
	.long	0                               ; 0x0
	.long	2002825190                      ; 0x7760afe6
	;; [unrolled: 4-line block ×5, first 2 shown]
	.long	0                               ; 0x0
	.long	0                               ; 0x0
	;; [unrolled: 1-line block ×3, first 2 shown]
	.long	254141371                       ; 0xf25e3bb
	.long	0                               ; 0x0
	.long	0                               ; 0x0
	;; [unrolled: 1-line block ×3, first 2 shown]
	.long	508282742                       ; 0x1e4bc776
	.long	0                               ; 0x0
	.long	0                               ; 0x0
	.long	0                               ; 0x0
	.long	1016565484                      ; 0x3c978eec
	.long	0                               ; 0x0
	.long	0                               ; 0x0
	;; [unrolled: 1-line block ×4, first 2 shown]
	.long	698651200                       ; 0x29a49240
	.long	0                               ; 0x0
	.long	0                               ; 0x0
	.long	0                               ; 0x0
	.long	1397302401                      ; 0x53492481
	.long	0                               ; 0x0
	.long	0                               ; 0x0
	.long	0                               ; 0x0
	.long	2794604802                      ; 0xa6924902
	;; [unrolled: 4-line block ×4, first 2 shown]
	.long	0                               ; 0x0
	.long	0                               ; 0x0
	;; [unrolled: 1-line block ×3, first 2 shown]
	.long	882001936                       ; 0x34924810
	.long	0                               ; 0x0
	.long	0                               ; 0x0
	.long	0                               ; 0x0
	.long	1764003872                      ; 0x69249020
	.long	0                               ; 0x0
	.long	0                               ; 0x0
	.long	0                               ; 0x0
	.long	3528007744                      ; 0xd2492040
	;; [unrolled: 4-line block ×5, first 2 shown]
	.long	0                               ; 0x0
	.long	0                               ; 0x0
	.long	0                               ; 0x0
	.long	613549064                       ; 0x24920408
	.long	0                               ; 0x0
	.long	0                               ; 0x0
	.long	0                               ; 0x0
	.long	1227098128                      ; 0x49240810
	.long	0                               ; 0x0
	.long	0                               ; 0x0
	.long	0                               ; 0x0
	.long	2454196256                      ; 0x92481020
	.long	0                               ; 0x0
	.long	0                               ; 0x0
	.long	0                               ; 0x0
	.long	613425216                       ; 0x24902040
	.long	0                               ; 0x0
	.long	0                               ; 0x0
	.long	0                               ; 0x0
	.long	1226850432                      ; 0x49204080
	.long	0                               ; 0x0
	.long	0                               ; 0x0
	.long	0                               ; 0x0
	.long	2453700864                      ; 0x92408100
	;; [unrolled: 12-line block ×5, first 2 shown]
	.long	0                               ; 0x0
	.long	0                               ; 0x0
	.long	0                               ; 0x0
	.long	1364010130                      ; 0x514d2492
	.long	0                               ; 0x0
	.long	0                               ; 0x0
	.long	0                               ; 0x0
	.long	2728020260                      ; 0xa29a4924
	;; [unrolled: 4-line block ×4, first 2 shown]
	.long	0                               ; 0x0
	.long	0                               ; 0x0
	;; [unrolled: 1-line block ×3, first 2 shown]
	.long	349325600                       ; 0x14d24920
	.long	0                               ; 0x0
	.long	0                               ; 0x0
	;; [unrolled: 1-line block ×16, first 2 shown]
	.long	2048                            ; 0x800
	.long	0                               ; 0x0
	.long	0                               ; 0x0
	.long	0                               ; 0x0
	.long	4096                            ; 0x1000
	.long	0                               ; 0x0
	.long	0                               ; 0x0
	.long	0                               ; 0x0
	;; [unrolled: 4-line block ×3, first 2 shown]
	.long	16384                           ; 0x4000
	.long	0                               ; 0x0
	.long	0                               ; 0x0
	.long	0                               ; 0x0
	.long	32768                           ; 0x8000
	.long	0                               ; 0x0
	.long	0                               ; 0x0
	.long	0                               ; 0x0
	;; [unrolled: 4-line block ×3, first 2 shown]
	.long	131072                          ; 0x20000
	.long	0                               ; 0x0
	.long	0                               ; 0x0
	.long	0                               ; 0x0
	.long	262144                          ; 0x40000
	.long	0                               ; 0x0
	.long	0                               ; 0x0
	.long	0                               ; 0x0
	.long	524288                          ; 0x80000
	.long	0                               ; 0x0
	.long	0                               ; 0x0
	.long	0                               ; 0x0
	.long	1048576                         ; 0x100000
	.long	0                               ; 0x0
	.long	0                               ; 0x0
	.long	0                               ; 0x0
	.long	2097152                         ; 0x200000
	.long	0                               ; 0x0
	.long	0                               ; 0x0
	.long	0                               ; 0x0
	;; [unrolled: 4-line block ×4, first 2 shown]
	.long	16777216                        ; 0x1000000
	.long	0                               ; 0x0
	.long	0                               ; 0x0
	.long	0                               ; 0x0
	.long	33554432                        ; 0x2000000
	.long	0                               ; 0x0
	.long	0                               ; 0x0
	.long	0                               ; 0x0
	;; [unrolled: 4-line block ×3, first 2 shown]
	.long	134217729                       ; 0x8000001
	.long	0                               ; 0x0
	.long	0                               ; 0x0
	.long	0                               ; 0x0
	.long	268435458                       ; 0x10000002
	.long	0                               ; 0x0
	.long	0                               ; 0x0
	.long	0                               ; 0x0
	;; [unrolled: 4-line block ×3, first 2 shown]
	.long	1073741834                      ; 0x4000000a
	.long	0                               ; 0x0
	.long	0                               ; 0x0
	;; [unrolled: 1-line block ×3, first 2 shown]
	.long	2147483668                      ; 0x80000014
	.long	0                               ; 0x0
	.long	0                               ; 0x0
	;; [unrolled: 1-line block ×3, first 2 shown]
	.long	40                              ; 0x28
	.long	0                               ; 0x0
	.long	0                               ; 0x0
	;; [unrolled: 1-line block ×3, first 2 shown]
	.long	80                              ; 0x50
	.long	0                               ; 0x0
	.long	0                               ; 0x0
	.long	0                               ; 0x0
	.long	160                             ; 0xa0
	.long	0                               ; 0x0
	.long	0                               ; 0x0
	.long	0                               ; 0x0
	.long	320                             ; 0x140
	;; [unrolled: 4-line block ×3, first 2 shown]
	.long	0                               ; 0x0
	.long	0                               ; 0x0
	;; [unrolled: 1-line block ×3, first 2 shown]
	.long	1280                            ; 0x500
	.long	0                               ; 0x0
	.long	0                               ; 0x0
	;; [unrolled: 1-line block ×3, first 2 shown]
	.long	512                             ; 0x200
	.long	0                               ; 0x0
	.long	0                               ; 0x0
	;; [unrolled: 1-line block ×3, first 2 shown]
	.long	1024                            ; 0x400
	.long	0                               ; 0x0
	.long	0                               ; 0x0
	;; [unrolled: 1-line block ×20, first 2 shown]
	.long	18087960                        ; 0x1140018
	.long	0                               ; 0x0
	.long	0                               ; 0x0
	.long	0                               ; 0x0
	.long	36175920                        ; 0x2280030
	.long	0                               ; 0x0
	.long	0                               ; 0x0
	.long	0                               ; 0x0
	;; [unrolled: 4-line block ×3, first 2 shown]
	.long	144703680                       ; 0x8a000c0
	.long	0                               ; 0x0
	.long	0                               ; 0x0
	.long	0                               ; 0x0
	.long	289407361                       ; 0x11400181
	.long	0                               ; 0x0
	.long	0                               ; 0x0
	.long	0                               ; 0x0
	;; [unrolled: 4-line block ×3, first 2 shown]
	.long	1157629444                      ; 0x45000604
	.long	0                               ; 0x0
	.long	0                               ; 0x0
	;; [unrolled: 1-line block ×3, first 2 shown]
	.long	2315258888                      ; 0x8a000c08
	.long	0                               ; 0x0
	.long	0                               ; 0x0
	;; [unrolled: 1-line block ×3, first 2 shown]
	.long	335550481                       ; 0x14001811
	.long	0                               ; 0x0
	.long	0                               ; 0x0
	;; [unrolled: 1-line block ×3, first 2 shown]
	.long	671100962                       ; 0x28003022
	.long	0                               ; 0x0
	.long	0                               ; 0x0
	.long	0                               ; 0x0
	.long	1342201925                      ; 0x50006045
	.long	0                               ; 0x0
	.long	0                               ; 0x0
	.long	0                               ; 0x0
	.long	2684403851                      ; 0xa000c08b
	;; [unrolled: 4-line block ×4, first 2 shown]
	.long	0                               ; 0x0
	.long	0                               ; 0x0
	;; [unrolled: 1-line block ×3, first 2 shown]
	.long	394332                          ; 0x6045c
	.long	0                               ; 0x0
	.long	0                               ; 0x0
	.long	0                               ; 0x0
	.long	18352288                        ; 0x11808a0
	.long	0                               ; 0x0
	.long	0                               ; 0x0
	.long	0                               ; 0x0
	.long	36704576                        ; 0x2301140
	;; [unrolled: 4-line block ×3, first 2 shown]
	.long	0                               ; 0x0
	.long	0                               ; 0x0
	.long	0                               ; 0x0
	.long	146818304                       ; 0x8c04500
	.long	0                               ; 0x0
	.long	0                               ; 0x0
	.long	0                               ; 0x0
	.long	293636608                       ; 0x11808a00
	;; [unrolled: 4-line block ×3, first 2 shown]
	.long	0                               ; 0x0
	.long	0                               ; 0x0
	;; [unrolled: 1-line block ×3, first 2 shown]
	.long	1174546432                      ; 0x46022800
	.long	0                               ; 0x0
	.long	0                               ; 0x0
	;; [unrolled: 1-line block ×3, first 2 shown]
	.long	2349092864                      ; 0x8c045000
	.long	0                               ; 0x0
	.long	0                               ; 0x0
	.long	0                               ; 0x0
	.long	403218432                       ; 0x1808a000
	.long	0                               ; 0x0
	.long	0                               ; 0x0
	;; [unrolled: 1-line block ×3, first 2 shown]
	.long	806436865                       ; 0x30114001
	.long	0                               ; 0x0
	.long	0                               ; 0x0
	.long	0                               ; 0x0
	.long	1612873731                      ; 0x60228003
	.long	0                               ; 0x0
	.long	0                               ; 0x0
	.long	0                               ; 0x0
	.long	3225747462                      ; 0xc0450006
	;; [unrolled: 4-line block ×3, first 2 shown]
	.long	0                               ; 0x0
	.long	0                               ; 0x0
	;; [unrolled: 1-line block ×32, first 2 shown]
	.long	2199499341                      ; 0x8319b24d
	.long	0                               ; 0x0
	.long	0                               ; 0x0
	.long	0                               ; 0x0
	.long	104031387                       ; 0x633649b
	.long	0                               ; 0x0
	.long	0                               ; 0x0
	.long	0                               ; 0x0
	.long	208062775                       ; 0xc66c937
	;; [unrolled: 4-line block ×4, first 2 shown]
	.long	0                               ; 0x0
	.long	0                               ; 0x0
	.long	0                               ; 0x0
	.long	1664502205                      ; 0x633649bd
	.long	0                               ; 0x0
	.long	0                               ; 0x0
	.long	0                               ; 0x0
	.long	3329004410                      ; 0xc66c937a
	;; [unrolled: 4-line block ×3, first 2 shown]
	.long	0                               ; 0x0
	.long	0                               ; 0x0
	;; [unrolled: 1-line block ×3, first 2 shown]
	.long	431115754                       ; 0x19b24dea
	.long	0                               ; 0x0
	.long	0                               ; 0x0
	.long	0                               ; 0x0
	.long	862231508                       ; 0x33649bd4
	.long	0                               ; 0x0
	.long	0                               ; 0x0
	.long	0                               ; 0x0
	.long	1724463016                      ; 0x66c937a8
	.long	0                               ; 0x0
	.long	0                               ; 0x0
	.long	0                               ; 0x0
	.long	3448926032                      ; 0xcd926f50
	;; [unrolled: 4-line block ×3, first 2 shown]
	.long	0                               ; 0x0
	.long	0                               ; 0x0
	;; [unrolled: 1-line block ×3, first 2 shown]
	.long	910802242                       ; 0x3649bd42
	.long	0                               ; 0x0
	.long	0                               ; 0x0
	.long	0                               ; 0x0
	.long	1821604484                      ; 0x6c937a84
	.long	0                               ; 0x0
	.long	0                               ; 0x0
	.long	0                               ; 0x0
	.long	3643208968                      ; 0xd926f508
	.long	0                               ; 0x0
	.long	0                               ; 0x0
	.long	0                               ; 0x0
	.long	2991450640                      ; 0xb24dea10
	.long	0                               ; 0x0
	.long	0                               ; 0x0
	.long	0                               ; 0x0
	.long	1687933984                      ; 0x649bd420
	.long	0                               ; 0x0
	.long	0                               ; 0x0
	.long	0                               ; 0x0
	.long	3375867968                      ; 0xc937a840
	.long	0                               ; 0x0
	.long	0                               ; 0x0
	.long	0                               ; 0x0
	.long	2456768640                      ; 0x926f5080
	.long	0                               ; 0x0
	.long	0                               ; 0x0
	;; [unrolled: 1-line block ×3, first 2 shown]
	.long	618569985                       ; 0x24dea101
	.long	0                               ; 0x0
	.long	0                               ; 0x0
	;; [unrolled: 1-line block ×3, first 2 shown]
	.long	1237139970                      ; 0x49bd4202
	.long	0                               ; 0x0
	.long	0                               ; 0x0
	;; [unrolled: 1-line block ×3, first 2 shown]
	.long	274937417                       ; 0x10633649
	.long	0                               ; 0x0
	.long	0                               ; 0x0
	.long	0                               ; 0x0
	.long	549874835                       ; 0x20c66c93
	.long	0                               ; 0x0
	.long	0                               ; 0x0
	;; [unrolled: 1-line block ×3, first 2 shown]
	.long	1099749670                      ; 0x418cd926
	.long	0                               ; 0x0
	.long	0                               ; 0x0
	;; [unrolled: 1-line block ×4, first 2 shown]
	.long	1226833920                      ; 0x49200000
	.long	0                               ; 0x0
	.long	0                               ; 0x0
	.long	0                               ; 0x0
	.long	2453667840                      ; 0x92400000
	.long	0                               ; 0x0
	.long	0                               ; 0x0
	.long	0                               ; 0x0
	.long	612368384                       ; 0x24800000
	.long	0                               ; 0x0
	.long	0                               ; 0x0
	.long	0                               ; 0x0
	.long	1224736768                      ; 0x49000000
	.long	0                               ; 0x0
	.long	0                               ; 0x0
	.long	0                               ; 0x0
	.long	2449473536                      ; 0x92000000
	.long	0                               ; 0x0
	.long	0                               ; 0x0
	.long	0                               ; 0x0
	.long	603979776                       ; 0x24000000
	.long	0                               ; 0x0
	.long	0                               ; 0x0
	.long	0                               ; 0x0
	;; [unrolled: 12-line block ×3, first 2 shown]
	.long	1073741828                      ; 0x40000004
	.long	0                               ; 0x0
	.long	0                               ; 0x0
	;; [unrolled: 1-line block ×3, first 2 shown]
	.long	2147483657                      ; 0x80000009
	.long	0                               ; 0x0
	.long	0                               ; 0x0
	.long	0                               ; 0x0
	.long	18                              ; 0x12
	.long	0                               ; 0x0
	.long	0                               ; 0x0
	.long	0                               ; 0x0
	.long	36                              ; 0x24
	;; [unrolled: 4-line block ×3, first 2 shown]
	.long	0                               ; 0x0
	.long	0                               ; 0x0
	.long	0                               ; 0x0
	.long	144                             ; 0x90
	.long	0                               ; 0x0
	.long	0                               ; 0x0
	.long	0                               ; 0x0
	.long	288                             ; 0x120
	;; [unrolled: 4-line block ×3, first 2 shown]
	.long	0                               ; 0x0
	.long	0                               ; 0x0
	.long	0                               ; 0x0
	.long	1152                            ; 0x480
	.long	0                               ; 0x0
	.long	0                               ; 0x0
	.long	0                               ; 0x0
	.long	2304                            ; 0x900
	;; [unrolled: 4-line block ×4, first 2 shown]
	.long	0                               ; 0x0
	.long	0                               ; 0x0
	.long	0                               ; 0x0
	.long	18432                           ; 0x4800
	.long	0                               ; 0x0
	.long	0                               ; 0x0
	.long	0                               ; 0x0
	.long	36864                           ; 0x9000
	;; [unrolled: 4-line block ×3, first 2 shown]
	.long	0                               ; 0x0
	.long	0                               ; 0x0
	;; [unrolled: 1-line block ×3, first 2 shown]
	.long	147456                          ; 0x24000
	.long	0                               ; 0x0
	.long	0                               ; 0x0
	;; [unrolled: 1-line block ×3, first 2 shown]
	.long	1227128832                      ; 0x49248000
	.long	0                               ; 0x0
	.long	0                               ; 0x0
	;; [unrolled: 1-line block ×3, first 2 shown]
	.long	2454257664                      ; 0x92490000
	.long	0                               ; 0x0
	.long	0                               ; 0x0
	;; [unrolled: 1-line block ×3, first 2 shown]
	.long	613548032                       ; 0x24920000
	.long	0                               ; 0x0
	.long	0                               ; 0x0
	;; [unrolled: 1-line block ×3, first 2 shown]
	.long	1227096064                      ; 0x49240000
	.long	0                               ; 0x0
	.long	0                               ; 0x0
	.long	0                               ; 0x0
	.long	2454192128                      ; 0x92480000
	.long	0                               ; 0x0
	.long	0                               ; 0x0
	;; [unrolled: 1-line block ×3, first 2 shown]
	.long	613416960                       ; 0x24900000
	.long	0                               ; 0x0
	.long	0                               ; 0x0
	;; [unrolled: 1-line block ×16, first 2 shown]
	.long	320                             ; 0x140
	.long	0                               ; 0x0
	.long	0                               ; 0x0
	;; [unrolled: 1-line block ×3, first 2 shown]
	.long	640                             ; 0x280
	.long	0                               ; 0x0
	.long	0                               ; 0x0
	.long	0                               ; 0x0
	.long	1280                            ; 0x500
	.long	0                               ; 0x0
	.long	0                               ; 0x0
	.long	0                               ; 0x0
	.long	2560                            ; 0xa00
	;; [unrolled: 4-line block ×3, first 2 shown]
	.long	0                               ; 0x0
	.long	0                               ; 0x0
	.long	0                               ; 0x0
	.long	10240                           ; 0x2800
	.long	0                               ; 0x0
	.long	0                               ; 0x0
	.long	0                               ; 0x0
	.long	20480                           ; 0x5000
	;; [unrolled: 4-line block ×4, first 2 shown]
	.long	0                               ; 0x0
	.long	0                               ; 0x0
	.long	0                               ; 0x0
	.long	163840                          ; 0x28000
	.long	0                               ; 0x0
	.long	0                               ; 0x0
	.long	0                               ; 0x0
	.long	327680                          ; 0x50000
	;; [unrolled: 4-line block ×3, first 2 shown]
	.long	0                               ; 0x0
	.long	0                               ; 0x0
	.long	0                               ; 0x0
	.long	1310720                         ; 0x140000
	.long	0                               ; 0x0
	.long	0                               ; 0x0
	.long	0                               ; 0x0
	.long	2621440                         ; 0x280000
	;; [unrolled: 4-line block ×3, first 2 shown]
	.long	0                               ; 0x0
	.long	0                               ; 0x0
	.long	0                               ; 0x0
	.long	10485760                        ; 0xa00000
	.long	0                               ; 0x0
	.long	0                               ; 0x0
	.long	0                               ; 0x0
	.long	20971520                        ; 0x1400000
	;; [unrolled: 4-line block ×4, first 2 shown]
	.long	0                               ; 0x0
	.long	0                               ; 0x0
	.long	0                               ; 0x0
	.long	167772161                       ; 0xa000001
	.long	0                               ; 0x0
	.long	0                               ; 0x0
	.long	0                               ; 0x0
	.long	335544322                       ; 0x14000002
	;; [unrolled: 4-line block ×3, first 2 shown]
	.long	0                               ; 0x0
	.long	0                               ; 0x0
	.long	0                               ; 0x0
	.long	1342177288                      ; 0x50000008
	.long	0                               ; 0x0
	.long	0                               ; 0x0
	.long	0                               ; 0x0
	.long	2684354577                      ; 0xa0000011
	;; [unrolled: 4-line block ×4, first 2 shown]
	.long	0                               ; 0x0
	.long	0                               ; 0x0
	;; [unrolled: 1-line block ×3, first 2 shown]
	.long	136                             ; 0x88
	.long	0                               ; 0x0
	.long	0                               ; 0x0
	;; [unrolled: 1-line block ×3, first 2 shown]
	.long	80                              ; 0x50
	.long	0                               ; 0x0
	.long	0                               ; 0x0
	;; [unrolled: 1-line block ×3, first 2 shown]
	.long	160                             ; 0xa0
	.long	0                               ; 0x0
	.long	0                               ; 0x0
	;; [unrolled: 1-line block ×20, first 2 shown]
	.long	1417720836                      ; 0x5480b404
	.long	0                               ; 0x0
	.long	0                               ; 0x0
	.long	0                               ; 0x0
	.long	2835441672                      ; 0xa9016808
	.long	0                               ; 0x0
	.long	0                               ; 0x0
	.long	0                               ; 0x0
	;; [unrolled: 4-line block ×6, first 2 shown]
	.long	539820296                       ; 0x202d0108
	.long	0                               ; 0x0
	.long	0                               ; 0x0
	;; [unrolled: 1-line block ×3, first 2 shown]
	.long	1079640592                      ; 0x405a0210
	.long	0                               ; 0x0
	.long	0                               ; 0x0
	;; [unrolled: 1-line block ×3, first 2 shown]
	.long	2159281184                      ; 0x80b40420
	.long	0                               ; 0x0
	.long	0                               ; 0x0
	.long	0                               ; 0x0
	.long	23595072                        ; 0x1680840
	.long	0                               ; 0x0
	.long	0                               ; 0x0
	.long	0                               ; 0x0
	.long	47190144                        ; 0x2d01080
	;; [unrolled: 4-line block ×3, first 2 shown]
	.long	0                               ; 0x0
	.long	0                               ; 0x0
	.long	0                               ; 0x0
	.long	188760576                       ; 0xb404200
	.long	0                               ; 0x0
	.long	0                               ; 0x0
	.long	0                               ; 0x0
	.long	377521152                       ; 0x16808400
	;; [unrolled: 4-line block ×6, first 2 shown]
	.long	0                               ; 0x0
	.long	0                               ; 0x0
	.long	0                               ; 0x0
	.long	1947541549                      ; 0x7415202d
	.long	0                               ; 0x0
	.long	0                               ; 0x0
	.long	0                               ; 0x0
	.long	3895083098                      ; 0xe82a405a
	.long	0                               ; 0x0
	.long	0                               ; 0x0
	.long	0                               ; 0x0
	.long	3495198900                      ; 0xd05480b4
	.long	0                               ; 0x0
	.long	0                               ; 0x0
	.long	0                               ; 0x0
	.long	2695430504                      ; 0xa0a90168
	.long	0                               ; 0x0
	.long	0                               ; 0x0
	.long	0                               ; 0x0
	.long	1095893712                      ; 0x415202d0
	.long	0                               ; 0x0
	.long	0                               ; 0x0
	.long	0                               ; 0x0
	.long	2191787424                      ; 0x82a405a0
	.long	0                               ; 0x0
	.long	0                               ; 0x0
	;; [unrolled: 1-line block ×3, first 2 shown]
	.long	88607552                        ; 0x5480b40
	.long	0                               ; 0x0
	.long	0                               ; 0x0
	.long	0                               ; 0x0
	.long	177215104                       ; 0xa901680
	.long	0                               ; 0x0
	.long	0                               ; 0x0
	.long	0                               ; 0x0
	.long	354430209                       ; 0x15202d01
	;; [unrolled: 4-line block ×3, first 2 shown]
	.long	0                               ; 0x0
	.long	0                               ; 0x0
	;; [unrolled: 1-line block ×32, first 2 shown]
	.long	4196822677                      ; 0xfa266e95
	.long	0                               ; 0x0
	.long	0                               ; 0x0
	.long	0                               ; 0x0
	.long	4098678059                      ; 0xf44cdd2b
	.long	0                               ; 0x0
	.long	0                               ; 0x0
	.long	0                               ; 0x0
	;; [unrolled: 4-line block ×7, first 2 shown]
	.long	322390725                       ; 0x13374ac5
	.long	0                               ; 0x0
	.long	0                               ; 0x0
	;; [unrolled: 1-line block ×3, first 2 shown]
	.long	644781450                       ; 0x266e958a
	.long	0                               ; 0x0
	.long	0                               ; 0x0
	;; [unrolled: 1-line block ×3, first 2 shown]
	.long	1289562901                      ; 0x4cdd2b15
	.long	0                               ; 0x0
	.long	0                               ; 0x0
	;; [unrolled: 1-line block ×3, first 2 shown]
	.long	2579125802                      ; 0x99ba562a
	.long	0                               ; 0x0
	.long	0                               ; 0x0
	;; [unrolled: 1-line block ×3, first 2 shown]
	.long	863284308                       ; 0x3374ac54
	.long	0                               ; 0x0
	.long	0                               ; 0x0
	.long	0                               ; 0x0
	.long	1726568616                      ; 0x66e958a8
	.long	0                               ; 0x0
	.long	0                               ; 0x0
	.long	0                               ; 0x0
	.long	3453137233                      ; 0xcdd2b151
	;; [unrolled: 4-line block ×3, first 2 shown]
	.long	0                               ; 0x0
	.long	0                               ; 0x0
	;; [unrolled: 1-line block ×3, first 2 shown]
	.long	927647046                       ; 0x374ac546
	.long	0                               ; 0x0
	.long	0                               ; 0x0
	.long	0                               ; 0x0
	.long	1855294093                      ; 0x6e958a8d
	.long	0                               ; 0x0
	.long	0                               ; 0x0
	.long	0                               ; 0x0
	.long	3710588186                      ; 0xdd2b151a
	;; [unrolled: 4-line block ×9, first 2 shown]
	.long	0                               ; 0x0
	.long	0                               ; 0x0
	;; [unrolled: 1-line block ×4, first 2 shown]
	.long	524288                          ; 0x80000
	.long	0                               ; 0x0
	.long	0                               ; 0x0
	.long	0                               ; 0x0
	.long	1048576                         ; 0x100000
	.long	0                               ; 0x0
	.long	0                               ; 0x0
	.long	0                               ; 0x0
	.long	2097152                         ; 0x200000
	;; [unrolled: 4-line block ×4, first 2 shown]
	.long	0                               ; 0x0
	.long	0                               ; 0x0
	.long	0                               ; 0x0
	.long	16777216                        ; 0x1000000
	.long	0                               ; 0x0
	.long	0                               ; 0x0
	.long	0                               ; 0x0
	.long	33554433                        ; 0x2000001
	;; [unrolled: 4-line block ×3, first 2 shown]
	.long	0                               ; 0x0
	.long	0                               ; 0x0
	.long	0                               ; 0x0
	.long	134217732                       ; 0x8000004
	.long	0                               ; 0x0
	.long	0                               ; 0x0
	.long	0                               ; 0x0
	.long	268435464                       ; 0x10000008
	;; [unrolled: 4-line block ×3, first 2 shown]
	.long	0                               ; 0x0
	.long	0                               ; 0x0
	;; [unrolled: 1-line block ×3, first 2 shown]
	.long	1073741856                      ; 0x40000020
	.long	0                               ; 0x0
	.long	0                               ; 0x0
	;; [unrolled: 1-line block ×3, first 2 shown]
	.long	2147483713                      ; 0x80000041
	.long	0                               ; 0x0
	.long	0                               ; 0x0
	.long	0                               ; 0x0
	.long	130                             ; 0x82
	.long	0                               ; 0x0
	.long	0                               ; 0x0
	.long	0                               ; 0x0
	.long	260                             ; 0x104
	;; [unrolled: 4-line block ×3, first 2 shown]
	.long	0                               ; 0x0
	.long	0                               ; 0x0
	.long	0                               ; 0x0
	.long	1040                            ; 0x410
	.long	0                               ; 0x0
	.long	0                               ; 0x0
	.long	0                               ; 0x0
	.long	2080                            ; 0x820
	;; [unrolled: 4-line block ×4, first 2 shown]
	.long	0                               ; 0x0
	.long	0                               ; 0x0
	.long	0                               ; 0x0
	.long	16640                           ; 0x4100
	.long	0                               ; 0x0
	.long	0                               ; 0x0
	.long	0                               ; 0x0
	.long	33280                           ; 0x8200
	;; [unrolled: 4-line block ×3, first 2 shown]
	.long	0                               ; 0x0
	.long	0                               ; 0x0
	.long	0                               ; 0x0
	.long	133120                          ; 0x20800
	.long	0                               ; 0x0
	.long	0                               ; 0x0
	;; [unrolled: 1-line block ×3, first 2 shown]
	.long	266240                          ; 0x41000
	.long	0                               ; 0x0
	.long	0                               ; 0x0
	;; [unrolled: 1-line block ×3, first 2 shown]
	.long	8192                            ; 0x2000
	.long	0                               ; 0x0
	.long	0                               ; 0x0
	.long	0                               ; 0x0
	.long	16384                           ; 0x4000
	.long	0                               ; 0x0
	.long	0                               ; 0x0
	.long	0                               ; 0x0
	.long	32768                           ; 0x8000
	;; [unrolled: 4-line block ×3, first 2 shown]
	.long	0                               ; 0x0
	.long	0                               ; 0x0
	;; [unrolled: 1-line block ×3, first 2 shown]
	.long	131072                          ; 0x20000
	.long	0                               ; 0x0
	.long	0                               ; 0x0
	;; [unrolled: 1-line block ×3, first 2 shown]
	.long	262144                          ; 0x40000
	.long	0                               ; 0x0
	.long	0                               ; 0x0
	.long	0                               ; 0x0
	.long	0                               ; 0x0
	.long	0                               ; 0x0
	.long	0                               ; 0x0
	.long	0                               ; 0x0
	.long	0                               ; 0x0
	.long	0                               ; 0x0
	.long	0                               ; 0x0
	.long	0                               ; 0x0
	.long	0                               ; 0x0
	.long	0                               ; 0x0
	.long	0                               ; 0x0
	.long	0                               ; 0x0
	.long	0                               ; 0x0
	.long	8421376                         ; 0x808000
	.long	0                               ; 0x0
	.long	0                               ; 0x0
	.long	0                               ; 0x0
	.long	16842752                        ; 0x1010000
	.long	0                               ; 0x0
	.long	0                               ; 0x0
	.long	0                               ; 0x0
	.long	33685504                        ; 0x2020000
	;; [unrolled: 4-line block ×3, first 2 shown]
	.long	0                               ; 0x0
	.long	0                               ; 0x0
	.long	0                               ; 0x0
	.long	134742017                       ; 0x8080001
	.long	0                               ; 0x0
	.long	0                               ; 0x0
	.long	0                               ; 0x0
	.long	269484034                       ; 0x10100002
	;; [unrolled: 4-line block ×3, first 2 shown]
	.long	0                               ; 0x0
	.long	0                               ; 0x0
	;; [unrolled: 1-line block ×3, first 2 shown]
	.long	1077936138                      ; 0x4040000a
	.long	0                               ; 0x0
	.long	0                               ; 0x0
	;; [unrolled: 1-line block ×3, first 2 shown]
	.long	2155872276                      ; 0x80800014
	.long	0                               ; 0x0
	.long	0                               ; 0x0
	.long	0                               ; 0x0
	.long	16777256                        ; 0x1000028
	.long	0                               ; 0x0
	.long	0                               ; 0x0
	.long	0                               ; 0x0
	.long	33554512                        ; 0x2000050
	;; [unrolled: 4-line block ×3, first 2 shown]
	.long	0                               ; 0x0
	.long	0                               ; 0x0
	.long	0                               ; 0x0
	.long	134218049                       ; 0x8000141
	.long	0                               ; 0x0
	.long	0                               ; 0x0
	.long	0                               ; 0x0
	.long	268436098                       ; 0x10000282
	;; [unrolled: 4-line block ×3, first 2 shown]
	.long	0                               ; 0x0
	.long	0                               ; 0x0
	;; [unrolled: 1-line block ×3, first 2 shown]
	.long	1073744394                      ; 0x40000a0a
	.long	0                               ; 0x0
	.long	0                               ; 0x0
	;; [unrolled: 1-line block ×3, first 2 shown]
	.long	2147488788                      ; 0x80001414
	.long	0                               ; 0x0
	.long	0                               ; 0x0
	.long	0                               ; 0x0
	.long	10280                           ; 0x2828
	.long	0                               ; 0x0
	.long	0                               ; 0x0
	.long	0                               ; 0x0
	.long	20560                           ; 0x5050
	;; [unrolled: 4-line block ×4, first 2 shown]
	.long	0                               ; 0x0
	.long	0                               ; 0x0
	.long	0                               ; 0x0
	.long	164480                          ; 0x28280
	.long	0                               ; 0x0
	.long	0                               ; 0x0
	.long	0                               ; 0x0
	.long	328960                          ; 0x50500
	;; [unrolled: 4-line block ×3, first 2 shown]
	.long	0                               ; 0x0
	.long	0                               ; 0x0
	.long	0                               ; 0x0
	.long	1315840                         ; 0x141400
	.long	0                               ; 0x0
	.long	0                               ; 0x0
	.long	0                               ; 0x0
	.long	2631680                         ; 0x282800
	;; [unrolled: 4-line block ×5, first 2 shown]
	.long	0                               ; 0x0
	.long	0                               ; 0x0
	;; [unrolled: 1-line block ×20, first 2 shown]
	.long	844445257                       ; 0x32553649
	.long	0                               ; 0x0
	.long	0                               ; 0x0
	.long	0                               ; 0x0
	.long	1688890514                      ; 0x64aa6c92
	.long	0                               ; 0x0
	.long	0                               ; 0x0
	.long	0                               ; 0x0
	.long	3377781029                      ; 0xc954d925
	;; [unrolled: 4-line block ×3, first 2 shown]
	.long	0                               ; 0x0
	.long	0                               ; 0x0
	;; [unrolled: 1-line block ×3, first 2 shown]
	.long	626222228                       ; 0x25536494
	.long	0                               ; 0x0
	.long	0                               ; 0x0
	;; [unrolled: 1-line block ×3, first 2 shown]
	.long	1252444457                      ; 0x4aa6c929
	.long	0                               ; 0x0
	.long	0                               ; 0x0
	;; [unrolled: 1-line block ×3, first 2 shown]
	.long	2504888914                      ; 0x954d9252
	.long	0                               ; 0x0
	.long	0                               ; 0x0
	;; [unrolled: 1-line block ×3, first 2 shown]
	.long	714810532                       ; 0x2a9b24a4
	.long	0                               ; 0x0
	.long	0                               ; 0x0
	.long	0                               ; 0x0
	.long	1429621065                      ; 0x55364949
	.long	0                               ; 0x0
	.long	0                               ; 0x0
	.long	0                               ; 0x0
	.long	2859242131                      ; 0xaa6c9293
	;; [unrolled: 4-line block ×12, first 2 shown]
	.long	0                               ; 0x0
	.long	0                               ; 0x0
	;; [unrolled: 1-line block ×3, first 2 shown]
	.long	775050550                       ; 0x2e325536
	.long	0                               ; 0x0
	.long	0                               ; 0x0
	.long	0                               ; 0x0
	.long	1550101100                      ; 0x5c64aa6c
	.long	0                               ; 0x0
	.long	0                               ; 0x0
	.long	0                               ; 0x0
	.long	3100202201                      ; 0xb8c954d9
	;; [unrolled: 4-line block ×6, first 2 shown]
	.long	0                               ; 0x0
	.long	0                               ; 0x0
	;; [unrolled: 1-line block ×3, first 2 shown]
	.long	422222628                       ; 0x192a9b24
	.long	0                               ; 0x0
	.long	0                               ; 0x0
	;; [unrolled: 1-line block ×32, first 2 shown]
	.long	2034053848                      ; 0x793d32d8
	.long	0                               ; 0x0
	.long	0                               ; 0x0
	.long	0                               ; 0x0
	.long	4068107696                      ; 0xf27a65b0
	.long	0                               ; 0x0
	.long	0                               ; 0x0
	.long	0                               ; 0x0
	;; [unrolled: 4-line block ×5, first 2 shown]
	.long	665213709                       ; 0x27a65b0d
	.long	0                               ; 0x0
	.long	0                               ; 0x0
	.long	0                               ; 0x0
	.long	1330427418                      ; 0x4f4cb61a
	.long	0                               ; 0x0
	.long	0                               ; 0x0
	.long	0                               ; 0x0
	.long	2660854837                      ; 0x9e996c35
	;; [unrolled: 4-line block ×10, first 2 shown]
	.long	0                               ; 0x0
	.long	0                               ; 0x0
	.long	0                               ; 0x0
	.long	853043794                       ; 0x32d86a52
	.long	0                               ; 0x0
	.long	0                               ; 0x0
	.long	0                               ; 0x0
	.long	1706087588                      ; 0x65b0d4a4
	.long	0                               ; 0x0
	.long	0                               ; 0x0
	.long	0                               ; 0x0
	.long	3412175176                      ; 0xcb61a948
	;; [unrolled: 4-line block ×3, first 2 shown]
	.long	0                               ; 0x0
	.long	0                               ; 0x0
	;; [unrolled: 1-line block ×3, first 2 shown]
	.long	763798816                       ; 0x2d86a520
	.long	0                               ; 0x0
	.long	0                               ; 0x0
	.long	0                               ; 0x0
	.long	1527597633                      ; 0x5b0d4a41
	.long	0                               ; 0x0
	.long	0                               ; 0x0
	.long	0                               ; 0x0
	.long	3475482203                      ; 0xcf27a65b
	;; [unrolled: 4-line block ×4, first 2 shown]
	.long	0                               ; 0x0
	.long	0                               ; 0x0
	;; [unrolled: 1-line block ×4, first 2 shown]
	.long	8390656                         ; 0x800800
	.long	0                               ; 0x0
	.long	0                               ; 0x0
	.long	0                               ; 0x0
	.long	16781312                        ; 0x1001000
	.long	0                               ; 0x0
	.long	0                               ; 0x0
	.long	0                               ; 0x0
	.long	33562625                        ; 0x2002001
	;; [unrolled: 4-line block ×3, first 2 shown]
	.long	0                               ; 0x0
	.long	0                               ; 0x0
	.long	0                               ; 0x0
	.long	134250500                       ; 0x8008004
	.long	0                               ; 0x0
	.long	0                               ; 0x0
	.long	0                               ; 0x0
	.long	268501000                       ; 0x10010008
	;; [unrolled: 4-line block ×3, first 2 shown]
	.long	0                               ; 0x0
	.long	0                               ; 0x0
	.long	0                               ; 0x0
	.long	1074004000                      ; 0x40040020
	.long	0                               ; 0x0
	.long	0                               ; 0x0
	;; [unrolled: 1-line block ×3, first 2 shown]
	.long	2148008001                      ; 0x80080041
	.long	0                               ; 0x0
	.long	0                               ; 0x0
	.long	0                               ; 0x0
	.long	1048706                         ; 0x100082
	.long	0                               ; 0x0
	.long	0                               ; 0x0
	.long	0                               ; 0x0
	.long	2097412                         ; 0x200104
	;; [unrolled: 4-line block ×4, first 2 shown]
	.long	0                               ; 0x0
	.long	0                               ; 0x0
	.long	0                               ; 0x0
	.long	16779296                        ; 0x1000820
	.long	0                               ; 0x0
	.long	0                               ; 0x0
	.long	0                               ; 0x0
	.long	33558593                        ; 0x2001041
	;; [unrolled: 4-line block ×3, first 2 shown]
	.long	0                               ; 0x0
	.long	0                               ; 0x0
	.long	0                               ; 0x0
	.long	134234372                       ; 0x8004104
	.long	0                               ; 0x0
	.long	0                               ; 0x0
	.long	0                               ; 0x0
	.long	268468744                       ; 0x10008208
	;; [unrolled: 4-line block ×3, first 2 shown]
	.long	0                               ; 0x0
	.long	0                               ; 0x0
	;; [unrolled: 1-line block ×3, first 2 shown]
	.long	1073874976                      ; 0x40020820
	.long	0                               ; 0x0
	.long	0                               ; 0x0
	;; [unrolled: 1-line block ×3, first 2 shown]
	.long	2147749953                      ; 0x80041041
	.long	0                               ; 0x0
	.long	0                               ; 0x0
	;; [unrolled: 1-line block ×3, first 2 shown]
	.long	532610                          ; 0x82082
	.long	0                               ; 0x0
	.long	0                               ; 0x0
	.long	0                               ; 0x0
	.long	1065220                         ; 0x104104
	.long	0                               ; 0x0
	.long	0                               ; 0x0
	.long	0                               ; 0x0
	.long	2130440                         ; 0x208208
	;; [unrolled: 4-line block ×3, first 2 shown]
	.long	0                               ; 0x0
	.long	0                               ; 0x0
	.long	0                               ; 0x0
	.long	131104                          ; 0x20020
	.long	0                               ; 0x0
	.long	0                               ; 0x0
	.long	0                               ; 0x0
	.long	262208                          ; 0x40040
	;; [unrolled: 4-line block ×3, first 2 shown]
	.long	0                               ; 0x0
	.long	0                               ; 0x0
	.long	0                               ; 0x0
	.long	1048832                         ; 0x100100
	.long	0                               ; 0x0
	.long	0                               ; 0x0
	.long	0                               ; 0x0
	.long	2097664                         ; 0x200200
	;; [unrolled: 4-line block ×3, first 2 shown]
	.long	0                               ; 0x0
	.long	0                               ; 0x0
	;; [unrolled: 1-line block ×16, first 2 shown]
	.long	591396869                       ; 0x23400005
	.long	0                               ; 0x0
	.long	0                               ; 0x0
	.long	0                               ; 0x0
	.long	1182793738                      ; 0x4680000a
	.long	0                               ; 0x0
	.long	0                               ; 0x0
	;; [unrolled: 1-line block ×3, first 2 shown]
	.long	2365587477                      ; 0x8d000015
	.long	0                               ; 0x0
	.long	0                               ; 0x0
	;; [unrolled: 1-line block ×3, first 2 shown]
	.long	436207659                       ; 0x1a00002b
	.long	0                               ; 0x0
	.long	0                               ; 0x0
	;; [unrolled: 1-line block ×3, first 2 shown]
	.long	872415319                       ; 0x34000057
	.long	0                               ; 0x0
	.long	0                               ; 0x0
	.long	0                               ; 0x0
	.long	1744830638                      ; 0x680000ae
	.long	0                               ; 0x0
	.long	0                               ; 0x0
	.long	0                               ; 0x0
	.long	3489661276                      ; 0xd000015c
	;; [unrolled: 4-line block ×5, first 2 shown]
	.long	0                               ; 0x0
	.long	0                               ; 0x0
	;; [unrolled: 1-line block ×3, first 2 shown]
	.long	5576                            ; 0x15c8
	.long	0                               ; 0x0
	.long	0                               ; 0x0
	.long	0                               ; 0x0
	.long	11152                           ; 0x2b90
	.long	0                               ; 0x0
	.long	0                               ; 0x0
	.long	0                               ; 0x0
	.long	22304                           ; 0x5720
	;; [unrolled: 4-line block ×4, first 2 shown]
	.long	0                               ; 0x0
	.long	0                               ; 0x0
	.long	0                               ; 0x0
	.long	178432                          ; 0x2b900
	.long	0                               ; 0x0
	.long	0                               ; 0x0
	.long	0                               ; 0x0
	.long	356864                          ; 0x57200
	.long	0                               ; 0x0
	.long	0                               ; 0x0
	.long	0                               ; 0x0
	.long	713728                          ; 0xae400
	.long	0                               ; 0x0
	.long	0                               ; 0x0
	.long	0                               ; 0x0
	.long	1427456                         ; 0x15c800
	.long	0                               ; 0x0
	.long	0                               ; 0x0
	.long	0                               ; 0x0
	.long	2854912                         ; 0x2b9000
	;; [unrolled: 4-line block ×3, first 2 shown]
	.long	0                               ; 0x0
	.long	0                               ; 0x0
	.long	0                               ; 0x0
	.long	11419648                        ; 0xae4000
	.long	0                               ; 0x0
	.long	0                               ; 0x0
	.long	0                               ; 0x0
	.long	22839296                        ; 0x15c8000
	;; [unrolled: 4-line block ×4, first 2 shown]
	.long	0                               ; 0x0
	.long	0                               ; 0x0
	.long	0                               ; 0x0
	.long	182714369                       ; 0xae40001
	.long	0                               ; 0x0
	.long	0                               ; 0x0
	.long	0                               ; 0x0
	.long	365428738                       ; 0x15c80002
	;; [unrolled: 4-line block ×4, first 2 shown]
	.long	0                               ; 0x0
	.long	0                               ; 0x0
	;; [unrolled: 1-line block ×20, first 2 shown]
	.long	3001529316                      ; 0xb2e7b3e4
	.long	0                               ; 0x0
	.long	0                               ; 0x0
	.long	0                               ; 0x0
	.long	1708091336                      ; 0x65cf67c8
	.long	0                               ; 0x0
	.long	0                               ; 0x0
	.long	0                               ; 0x0
	;; [unrolled: 4-line block ×4, first 2 shown]
	.long	779828804                       ; 0x2e7b3e44
	.long	0                               ; 0x0
	.long	0                               ; 0x0
	.long	0                               ; 0x0
	.long	1559657609                      ; 0x5cf67c89
	.long	0                               ; 0x0
	.long	0                               ; 0x0
	.long	0                               ; 0x0
	.long	3119315218                      ; 0xb9ecf912
	;; [unrolled: 4-line block ×18, first 2 shown]
	.long	0                               ; 0x0
	.long	0                               ; 0x0
	;; [unrolled: 1-line block ×3, first 2 shown]
	.long	362233247                       ; 0x15973d9f
	.long	0                               ; 0x0
	.long	0                               ; 0x0
	;; [unrolled: 1-line block ×3, first 2 shown]
	.long	724466494                       ; 0x2b2e7b3e
	.long	0                               ; 0x0
	.long	0                               ; 0x0
	.long	0                               ; 0x0
	.long	1448932988                      ; 0x565cf67c
	.long	0                               ; 0x0
	.long	0                               ; 0x0
	.long	0                               ; 0x0
	.long	2897865977                      ; 0xacb9ecf9
	;; [unrolled: 4-line block ×3, first 2 shown]
	.long	0                               ; 0x0
	.long	0                               ; 0x0
	;; [unrolled: 1-line block ×32, first 2 shown]
	.long	30521863                        ; 0x1d1ba07
	.long	0                               ; 0x0
	.long	0                               ; 0x0
	;; [unrolled: 1-line block ×3, first 2 shown]
	.long	61043727                        ; 0x3a3740f
	.long	0                               ; 0x0
	.long	0                               ; 0x0
	.long	0                               ; 0x0
	.long	122087454                       ; 0x746e81e
	.long	0                               ; 0x0
	.long	0                               ; 0x0
	.long	0                               ; 0x0
	.long	244174909                       ; 0xe8dd03d
	;; [unrolled: 4-line block ×4, first 2 shown]
	.long	0                               ; 0x0
	.long	0                               ; 0x0
	.long	0                               ; 0x0
	.long	1953399275                      ; 0x746e81eb
	.long	0                               ; 0x0
	.long	0                               ; 0x0
	.long	0                               ; 0x0
	.long	3906798551                      ; 0xe8dd03d7
	;; [unrolled: 4-line block ×6, first 2 shown]
	.long	0                               ; 0x0
	.long	0                               ; 0x0
	;; [unrolled: 1-line block ×3, first 2 shown]
	.long	463502051                       ; 0x1ba07ae3
	.long	0                               ; 0x0
	.long	0                               ; 0x0
	.long	0                               ; 0x0
	.long	927004102                       ; 0x3740f5c6
	.long	0                               ; 0x0
	.long	0                               ; 0x0
	.long	0                               ; 0x0
	.long	1854008205                      ; 0x6e81eb8d
	.long	0                               ; 0x0
	.long	0                               ; 0x0
	.long	0                               ; 0x0
	.long	3708016410                      ; 0xdd03d71a
	;; [unrolled: 4-line block ×9, first 2 shown]
	.long	0                               ; 0x0
	.long	0                               ; 0x0
	;; [unrolled: 1-line block ×3, first 2 shown]
	.long	7630465                         ; 0x746e81
	.long	0                               ; 0x0
	.long	0                               ; 0x0
	;; [unrolled: 1-line block ×3, first 2 shown]
	.long	15260931                        ; 0xe8dd03
	.long	0                               ; 0x0
	.long	0                               ; 0x0
	;; [unrolled: 1-line block ×4, first 2 shown]
	.long	134300932                       ; 0x8014504
	.long	0                               ; 0x0
	.long	0                               ; 0x0
	.long	0                               ; 0x0
	.long	268601864                       ; 0x10028a08
	.long	0                               ; 0x0
	.long	0                               ; 0x0
	.long	0                               ; 0x0
	;; [unrolled: 4-line block ×3, first 2 shown]
	.long	1074407456                      ; 0x400a2820
	.long	0                               ; 0x0
	.long	0                               ; 0x0
	;; [unrolled: 1-line block ×3, first 2 shown]
	.long	2148814913                      ; 0x80145041
	.long	0                               ; 0x0
	.long	0                               ; 0x0
	;; [unrolled: 1-line block ×3, first 2 shown]
	.long	2662530                         ; 0x28a082
	.long	0                               ; 0x0
	.long	0                               ; 0x0
	.long	0                               ; 0x0
	.long	5325060                         ; 0x514104
	.long	0                               ; 0x0
	.long	0                               ; 0x0
	.long	0                               ; 0x0
	.long	10650120                        ; 0xa28208
	.long	0                               ; 0x0
	.long	0                               ; 0x0
	.long	0                               ; 0x0
	.long	21300240                        ; 0x1450410
	;; [unrolled: 4-line block ×4, first 2 shown]
	.long	0                               ; 0x0
	.long	0                               ; 0x0
	.long	0                               ; 0x0
	.long	170401925                       ; 0xa282085
	.long	0                               ; 0x0
	.long	0                               ; 0x0
	.long	0                               ; 0x0
	.long	340803850                       ; 0x1450410a
	;; [unrolled: 4-line block ×3, first 2 shown]
	.long	0                               ; 0x0
	.long	0                               ; 0x0
	.long	0                               ; 0x0
	.long	1363215400                      ; 0x51410428
	.long	0                               ; 0x0
	.long	0                               ; 0x0
	.long	0                               ; 0x0
	.long	2726430800                      ; 0xa2820850
	;; [unrolled: 4-line block ×4, first 2 shown]
	.long	0                               ; 0x0
	.long	0                               ; 0x0
	;; [unrolled: 1-line block ×3, first 2 shown]
	.long	336609920                       ; 0x14104280
	.long	0                               ; 0x0
	.long	0                               ; 0x0
	;; [unrolled: 1-line block ×3, first 2 shown]
	.long	673219840                       ; 0x28208500
	.long	0                               ; 0x0
	.long	0                               ; 0x0
	.long	0                               ; 0x0
	.long	1346439680                      ; 0x50410a00
	.long	0                               ; 0x0
	.long	0                               ; 0x0
	.long	0                               ; 0x0
	.long	2692879361                      ; 0xa0821401
	;; [unrolled: 4-line block ×4, first 2 shown]
	.long	0                               ; 0x0
	.long	0                               ; 0x0
	;; [unrolled: 1-line block ×3, first 2 shown]
	.long	68198408                        ; 0x410a008
	.long	0                               ; 0x0
	.long	0                               ; 0x0
	.long	0                               ; 0x0
	.long	2098452                         ; 0x200514
	.long	0                               ; 0x0
	.long	0                               ; 0x0
	.long	0                               ; 0x0
	.long	4196904                         ; 0x400a28
	;; [unrolled: 4-line block ×3, first 2 shown]
	.long	0                               ; 0x0
	.long	0                               ; 0x0
	.long	0                               ; 0x0
	.long	16787616                        ; 0x10028a0
	.long	0                               ; 0x0
	.long	0                               ; 0x0
	.long	0                               ; 0x0
	.long	33575233                        ; 0x2005141
	;; [unrolled: 4-line block ×3, first 2 shown]
	.long	0                               ; 0x0
	.long	0                               ; 0x0
	;; [unrolled: 1-line block ×16, first 2 shown]
	.long	661652741                       ; 0x27700505
	.long	0                               ; 0x0
	.long	0                               ; 0x0
	;; [unrolled: 1-line block ×3, first 2 shown]
	.long	1323305483                      ; 0x4ee00a0b
	.long	0                               ; 0x0
	.long	0                               ; 0x0
	;; [unrolled: 1-line block ×3, first 2 shown]
	.long	2646610967                      ; 0x9dc01417
	.long	0                               ; 0x0
	.long	0                               ; 0x0
	.long	0                               ; 0x0
	.long	998254638                       ; 0x3b80282e
	.long	0                               ; 0x0
	.long	0                               ; 0x0
	.long	0                               ; 0x0
	.long	1996509277                      ; 0x7700505d
	.long	0                               ; 0x0
	.long	0                               ; 0x0
	.long	0                               ; 0x0
	.long	3993018554                      ; 0xee00a0ba
	;; [unrolled: 4-line block ×8, first 2 shown]
	.long	0                               ; 0x0
	.long	0                               ; 0x0
	;; [unrolled: 1-line block ×3, first 2 shown]
	.long	5266776                         ; 0x505d58
	.long	0                               ; 0x0
	.long	0                               ; 0x0
	.long	0                               ; 0x0
	.long	10533552                        ; 0xa0bab0
	.long	0                               ; 0x0
	.long	0                               ; 0x0
	.long	0                               ; 0x0
	.long	21067104                        ; 0x1417560
	;; [unrolled: 4-line block ×4, first 2 shown]
	.long	0                               ; 0x0
	.long	0                               ; 0x0
	.long	0                               ; 0x0
	.long	168536833                       ; 0xa0bab01
	.long	0                               ; 0x0
	.long	0                               ; 0x0
	.long	0                               ; 0x0
	.long	337073666                       ; 0x14175602
	;; [unrolled: 4-line block ×3, first 2 shown]
	.long	0                               ; 0x0
	.long	0                               ; 0x0
	.long	0                               ; 0x0
	.long	1348294664                      ; 0x505d5808
	.long	0                               ; 0x0
	.long	0                               ; 0x0
	.long	0                               ; 0x0
	.long	2696589329                      ; 0xa0bab011
	;; [unrolled: 4-line block ×4, first 2 shown]
	.long	0                               ; 0x0
	.long	0                               ; 0x0
	;; [unrolled: 1-line block ×3, first 2 shown]
	.long	97878152                        ; 0x5d58088
	.long	0                               ; 0x0
	.long	0                               ; 0x0
	.long	0                               ; 0x0
	.long	195756305                       ; 0xbab0111
	.long	0                               ; 0x0
	.long	0                               ; 0x0
	.long	0                               ; 0x0
	.long	391512610                       ; 0x17560222
	;; [unrolled: 4-line block ×4, first 2 shown]
	.long	0                               ; 0x0
	.long	0                               ; 0x0
	;; [unrolled: 1-line block ×20, first 2 shown]
	.long	2938358989                      ; 0xaf23cccd
	.long	0                               ; 0x0
	.long	0                               ; 0x0
	.long	0                               ; 0x0
	.long	1581750682                      ; 0x5e47999a
	.long	0                               ; 0x0
	.long	0                               ; 0x0
	.long	0                               ; 0x0
	;; [unrolled: 4-line block ×8, first 2 shown]
	.long	600624491                       ; 0x23cccd6b
	.long	0                               ; 0x0
	.long	0                               ; 0x0
	;; [unrolled: 1-line block ×3, first 2 shown]
	.long	1201248983                      ; 0x47999ad7
	.long	0                               ; 0x0
	.long	0                               ; 0x0
	;; [unrolled: 1-line block ×3, first 2 shown]
	.long	2402497966                      ; 0x8f3335ae
	.long	0                               ; 0x0
	.long	0                               ; 0x0
	;; [unrolled: 1-line block ×3, first 2 shown]
	.long	510028637                       ; 0x1e666b5d
	.long	0                               ; 0x0
	.long	0                               ; 0x0
	.long	0                               ; 0x0
	.long	1020057274                      ; 0x3cccd6ba
	.long	0                               ; 0x0
	.long	0                               ; 0x0
	.long	0                               ; 0x0
	.long	2040114548                      ; 0x7999ad74
	;; [unrolled: 4-line block ×5, first 2 shown]
	.long	0                               ; 0x0
	.long	0                               ; 0x0
	;; [unrolled: 1-line block ×3, first 2 shown]
	.long	622191737                       ; 0x2515e479
	.long	0                               ; 0x0
	.long	0                               ; 0x0
	.long	0                               ; 0x0
	.long	1244383475                      ; 0x4a2bc8f3
	.long	0                               ; 0x0
	.long	0                               ; 0x0
	;; [unrolled: 1-line block ×3, first 2 shown]
	.long	2488766950                      ; 0x945791e6
	.long	0                               ; 0x0
	.long	0                               ; 0x0
	.long	0                               ; 0x0
	.long	682566604                       ; 0x28af23cc
	.long	0                               ; 0x0
	.long	0                               ; 0x0
	.long	0                               ; 0x0
	.long	1365133209                      ; 0x515e4799
	.long	0                               ; 0x0
	.long	0                               ; 0x0
	.long	0                               ; 0x0
	.long	2730266419                      ; 0xa2bc8f33
	.long	0                               ; 0x0
	.long	0                               ; 0x0
	.long	0                               ; 0x0
	.long	1165565542                      ; 0x45791e66
	.long	0                               ; 0x0
	.long	0                               ; 0x0
	.long	0                               ; 0x0
	.long	2331131084                      ; 0x8af23ccc
	.long	0                               ; 0x0
	.long	0                               ; 0x0
	;; [unrolled: 1-line block ×3, first 2 shown]
	.long	367294873                       ; 0x15e47999
	.long	0                               ; 0x0
	.long	0                               ; 0x0
	;; [unrolled: 1-line block ×3, first 2 shown]
	.long	734589747                       ; 0x2bc8f333
	.long	0                               ; 0x0
	.long	0                               ; 0x0
	;; [unrolled: 1-line block ×3, first 2 shown]
	.long	1469179494                      ; 0x5791e666
	.long	0                               ; 0x0
	.long	0                               ; 0x0
	;; [unrolled: 1-line block ×32, first 2 shown]
	.long	33833481                        ; 0x2044209
	.long	0                               ; 0x0
	.long	0                               ; 0x0
	;; [unrolled: 1-line block ×3, first 2 shown]
	.long	67666962                        ; 0x4088412
	.long	0                               ; 0x0
	.long	0                               ; 0x0
	.long	0                               ; 0x0
	.long	135333924                       ; 0x8110824
	.long	0                               ; 0x0
	.long	0                               ; 0x0
	.long	0                               ; 0x0
	.long	270667848                       ; 0x10221048
	.long	0                               ; 0x0
	.long	0                               ; 0x0
	.long	0                               ; 0x0
	.long	541335697                       ; 0x20442091
	.long	0                               ; 0x0
	.long	0                               ; 0x0
	;; [unrolled: 1-line block ×3, first 2 shown]
	.long	1082671394                      ; 0x40884122
	.long	0                               ; 0x0
	.long	0                               ; 0x0
	;; [unrolled: 1-line block ×3, first 2 shown]
	.long	2165342788                      ; 0x81108244
	.long	0                               ; 0x0
	.long	0                               ; 0x0
	;; [unrolled: 1-line block ×3, first 2 shown]
	.long	35718281                        ; 0x2210489
	.long	0                               ; 0x0
	.long	0                               ; 0x0
	;; [unrolled: 1-line block ×3, first 2 shown]
	.long	71436563                        ; 0x4420913
	.long	0                               ; 0x0
	.long	0                               ; 0x0
	.long	0                               ; 0x0
	.long	142873126                       ; 0x8841226
	.long	0                               ; 0x0
	.long	0                               ; 0x0
	.long	0                               ; 0x0
	.long	285746252                       ; 0x1108244c
	;; [unrolled: 4-line block ×3, first 2 shown]
	.long	0                               ; 0x0
	.long	0                               ; 0x0
	;; [unrolled: 1-line block ×3, first 2 shown]
	.long	1142985010                      ; 0x44209132
	.long	0                               ; 0x0
	.long	0                               ; 0x0
	;; [unrolled: 1-line block ×3, first 2 shown]
	.long	2285970021                      ; 0x88412265
	.long	0                               ; 0x0
	.long	0                               ; 0x0
	;; [unrolled: 1-line block ×3, first 2 shown]
	.long	276972746                       ; 0x108244ca
	.long	0                               ; 0x0
	.long	0                               ; 0x0
	;; [unrolled: 1-line block ×3, first 2 shown]
	.long	553945492                       ; 0x21048994
	.long	0                               ; 0x0
	.long	0                               ; 0x0
	;; [unrolled: 1-line block ×3, first 2 shown]
	.long	1107890985                      ; 0x42091329
	.long	0                               ; 0x0
	.long	0                               ; 0x0
	;; [unrolled: 1-line block ×3, first 2 shown]
	.long	2215781970                      ; 0x84122652
	.long	0                               ; 0x0
	.long	0                               ; 0x0
	.long	0                               ; 0x0
	.long	136596644                       ; 0x8244ca4
	.long	0                               ; 0x0
	.long	0                               ; 0x0
	.long	0                               ; 0x0
	.long	273193289                       ; 0x10489949
	;; [unrolled: 4-line block ×3, first 2 shown]
	.long	0                               ; 0x0
	.long	0                               ; 0x0
	;; [unrolled: 1-line block ×3, first 2 shown]
	.long	1092773156                      ; 0x41226524
	.long	0                               ; 0x0
	.long	0                               ; 0x0
	;; [unrolled: 1-line block ×3, first 2 shown]
	.long	2151712833                      ; 0x80408841
	.long	0                               ; 0x0
	.long	0                               ; 0x0
	;; [unrolled: 1-line block ×3, first 2 shown]
	.long	8458370                         ; 0x811082
	.long	0                               ; 0x0
	.long	0                               ; 0x0
	;; [unrolled: 1-line block ×3, first 2 shown]
	.long	16916740                        ; 0x1022104
	.long	0                               ; 0x0
	.long	0                               ; 0x0
	;; [unrolled: 1-line block ×4, first 2 shown]
	.long	826542200                       ; 0x31440878
	.long	0                               ; 0x0
	.long	0                               ; 0x0
	.long	0                               ; 0x0
	.long	1653084401                      ; 0x628810f1
	.long	0                               ; 0x0
	.long	0                               ; 0x0
	.long	0                               ; 0x0
	.long	3306168803                      ; 0xc51021e3
	;; [unrolled: 4-line block ×3, first 2 shown]
	.long	0                               ; 0x0
	.long	0                               ; 0x0
	;; [unrolled: 1-line block ×3, first 2 shown]
	.long	339773324                       ; 0x1440878c
	.long	0                               ; 0x0
	.long	0                               ; 0x0
	;; [unrolled: 1-line block ×3, first 2 shown]
	.long	679546648                       ; 0x28810f18
	.long	0                               ; 0x0
	.long	0                               ; 0x0
	.long	0                               ; 0x0
	.long	1359093296                      ; 0x51021e30
	.long	0                               ; 0x0
	.long	0                               ; 0x0
	.long	0                               ; 0x0
	.long	2718186592                      ; 0xa2043c60
	;; [unrolled: 4-line block ×4, first 2 shown]
	.long	0                               ; 0x0
	.long	0                               ; 0x0
	.long	0                               ; 0x0
	.long	270656258                       ; 0x1021e302
	.long	0                               ; 0x0
	.long	0                               ; 0x0
	;; [unrolled: 1-line block ×3, first 2 shown]
	.long	541312516                       ; 0x2043c604
	.long	0                               ; 0x0
	.long	0                               ; 0x0
	;; [unrolled: 1-line block ×3, first 2 shown]
	.long	1082625032                      ; 0x40878c08
	.long	0                               ; 0x0
	.long	0                               ; 0x0
	;; [unrolled: 1-line block ×3, first 2 shown]
	.long	2165250065                      ; 0x810f1811
	.long	0                               ; 0x0
	.long	0                               ; 0x0
	;; [unrolled: 1-line block ×3, first 2 shown]
	.long	35532835                        ; 0x21e3023
	.long	0                               ; 0x0
	.long	0                               ; 0x0
	;; [unrolled: 1-line block ×3, first 2 shown]
	.long	71065670                        ; 0x43c6046
	.long	0                               ; 0x0
	.long	0                               ; 0x0
	.long	0                               ; 0x0
	.long	142131340                       ; 0x878c08c
	.long	0                               ; 0x0
	.long	0                               ; 0x0
	.long	0                               ; 0x0
	.long	284262680                       ; 0x10f18118
	;; [unrolled: 4-line block ×3, first 2 shown]
	.long	0                               ; 0x0
	.long	0                               ; 0x0
	;; [unrolled: 1-line block ×3, first 2 shown]
	.long	1137050721                      ; 0x43c60461
	.long	0                               ; 0x0
	.long	0                               ; 0x0
	;; [unrolled: 1-line block ×3, first 2 shown]
	.long	2274101442                      ; 0x878c08c2
	.long	0                               ; 0x0
	.long	0                               ; 0x0
	;; [unrolled: 1-line block ×3, first 2 shown]
	.long	253235589                       ; 0xf181185
	.long	0                               ; 0x0
	.long	0                               ; 0x0
	;; [unrolled: 1-line block ×3, first 2 shown]
	.long	506471179                       ; 0x1e30230b
	.long	0                               ; 0x0
	.long	0                               ; 0x0
	.long	0                               ; 0x0
	.long	1012942358                      ; 0x3c604616
	.long	0                               ; 0x0
	.long	0                               ; 0x0
	.long	0                               ; 0x0
	.long	2025884716                      ; 0x78c08c2c
	.long	0                               ; 0x0
	.long	0                               ; 0x0
	.long	0                               ; 0x0
	.long	3234140193                      ; 0xc0c51021
	.long	0                               ; 0x0
	.long	0                               ; 0x0
	.long	0                               ; 0x0
	.long	2173313091                      ; 0x818a2043
	.long	0                               ; 0x0
	.long	0                               ; 0x0
	;; [unrolled: 1-line block ×3, first 2 shown]
	.long	51658887                        ; 0x3144087
	.long	0                               ; 0x0
	.long	0                               ; 0x0
	.long	0                               ; 0x0
	.long	103317775                       ; 0x628810f
	.long	0                               ; 0x0
	.long	0                               ; 0x0
	.long	0                               ; 0x0
	.long	206635550                       ; 0xc51021e
	;; [unrolled: 4-line block ×3, first 2 shown]
	.long	0                               ; 0x0
	.long	0                               ; 0x0
	;; [unrolled: 1-line block ×16, first 2 shown]
	.long	2815455249                      ; 0xa7d07011
	.long	0                               ; 0x0
	.long	0                               ; 0x0
	.long	0                               ; 0x0
	.long	1335943203                      ; 0x4fa0e023
	.long	0                               ; 0x0
	.long	0                               ; 0x0
	.long	0                               ; 0x0
	;; [unrolled: 4-line block ×12, first 2 shown]
	.long	117513288                       ; 0x7011c48
	.long	0                               ; 0x0
	.long	0                               ; 0x0
	.long	0                               ; 0x0
	.long	235026577                       ; 0xe023891
	.long	0                               ; 0x0
	.long	0                               ; 0x0
	.long	0                               ; 0x0
	;; [unrolled: 4-line block ×4, first 2 shown]
	.long	1880212621                      ; 0x7011c48d
	.long	0                               ; 0x0
	.long	0                               ; 0x0
	.long	0                               ; 0x0
	.long	3760425243                      ; 0xe023891b
	.long	0                               ; 0x0
	.long	0                               ; 0x0
	.long	0                               ; 0x0
	;; [unrolled: 4-line block ×4, first 2 shown]
	.long	18630872                        ; 0x11c48d8
	.long	0                               ; 0x0
	.long	0                               ; 0x0
	.long	0                               ; 0x0
	.long	37261744                        ; 0x23891b0
	.long	0                               ; 0x0
	.long	0                               ; 0x0
	.long	0                               ; 0x0
	;; [unrolled: 4-line block ×3, first 2 shown]
	.long	149046977                       ; 0x8e246c1
	.long	0                               ; 0x0
	.long	0                               ; 0x0
	.long	0                               ; 0x0
	.long	298093954                       ; 0x11c48d82
	.long	0                               ; 0x0
	.long	0                               ; 0x0
	.long	0                               ; 0x0
	;; [unrolled: 4-line block ×3, first 2 shown]
	.long	1192375818                      ; 0x4712360a
	.long	0                               ; 0x0
	.long	0                               ; 0x0
	;; [unrolled: 1-line block ×3, first 2 shown]
	.long	703863812                       ; 0x29f41c04
	.long	0                               ; 0x0
	.long	0                               ; 0x0
	;; [unrolled: 1-line block ×3, first 2 shown]
	.long	1407727624                      ; 0x53e83808
	.long	0                               ; 0x0
	.long	0                               ; 0x0
	;; [unrolled: 1-line block ×20, first 2 shown]
	.long	1801783692                      ; 0x6b65098c
	.long	0                               ; 0x0
	.long	0                               ; 0x0
	.long	0                               ; 0x0
	.long	3603567385                      ; 0xd6ca1319
	.long	0                               ; 0x0
	.long	0                               ; 0x0
	.long	0                               ; 0x0
	;; [unrolled: 4-line block ×11, first 2 shown]
	.long	676095274                       ; 0x284c652a
	.long	0                               ; 0x0
	.long	0                               ; 0x0
	.long	0                               ; 0x0
	.long	1352190548                      ; 0x5098ca54
	.long	0                               ; 0x0
	.long	0                               ; 0x0
	.long	0                               ; 0x0
	.long	2704381097                      ; 0xa13194a9
	;; [unrolled: 4-line block ×14, first 2 shown]
	.long	0                               ; 0x0
	.long	0                               ; 0x0
	;; [unrolled: 1-line block ×3, first 2 shown]
	.long	450445923                       ; 0x1ad94263
	.long	0                               ; 0x0
	.long	0                               ; 0x0
	;; [unrolled: 1-line block ×3, first 2 shown]
	.long	900891846                       ; 0x35b284c6
	.long	0                               ; 0x0
	.long	0                               ; 0x0
	;; [unrolled: 1-line block ×32, first 2 shown]
	.long	67141650                        ; 0x4008012
	.long	0                               ; 0x0
	.long	0                               ; 0x0
	.long	0                               ; 0x0
	.long	134283300                       ; 0x8010024
	.long	0                               ; 0x0
	.long	0                               ; 0x0
	.long	0                               ; 0x0
	.long	268566600                       ; 0x10020048
	;; [unrolled: 4-line block ×3, first 2 shown]
	.long	0                               ; 0x0
	.long	0                               ; 0x0
	;; [unrolled: 1-line block ×3, first 2 shown]
	.long	1074266400                      ; 0x40080120
	.long	0                               ; 0x0
	.long	0                               ; 0x0
	;; [unrolled: 1-line block ×3, first 2 shown]
	.long	2148532800                      ; 0x80100240
	.long	0                               ; 0x0
	.long	0                               ; 0x0
	.long	0                               ; 0x0
	.long	2098304                         ; 0x200480
	.long	0                               ; 0x0
	.long	0                               ; 0x0
	.long	0                               ; 0x0
	.long	4196609                         ; 0x400901
	.long	0                               ; 0x0
	.long	0                               ; 0x0
	.long	0                               ; 0x0
	.long	8393218                         ; 0x801202
	.long	0                               ; 0x0
	.long	0                               ; 0x0
	.long	0                               ; 0x0
	.long	16786436                        ; 0x1002404
	.long	0                               ; 0x0
	.long	0                               ; 0x0
	.long	0                               ; 0x0
	.long	33572873                        ; 0x2004809
	;; [unrolled: 4-line block ×3, first 2 shown]
	.long	0                               ; 0x0
	.long	0                               ; 0x0
	.long	0                               ; 0x0
	.long	134291492                       ; 0x8012024
	.long	0                               ; 0x0
	.long	0                               ; 0x0
	.long	0                               ; 0x0
	.long	268582984                       ; 0x10024048
	;; [unrolled: 4-line block ×3, first 2 shown]
	.long	0                               ; 0x0
	.long	0                               ; 0x0
	;; [unrolled: 1-line block ×3, first 2 shown]
	.long	1074331936                      ; 0x40090120
	.long	0                               ; 0x0
	.long	0                               ; 0x0
	.long	0                               ; 0x0
	.long	2148663872                      ; 0x80120240
	.long	0                               ; 0x0
	.long	0                               ; 0x0
	.long	0                               ; 0x0
	.long	2360448                         ; 0x240480
	.long	0                               ; 0x0
	.long	0                               ; 0x0
	.long	0                               ; 0x0
	.long	4720897                         ; 0x480901
	;; [unrolled: 4-line block ×3, first 2 shown]
	.long	0                               ; 0x0
	.long	0                               ; 0x0
	;; [unrolled: 1-line block ×3, first 2 shown]
	.long	18883588                        ; 0x1202404
	.long	0                               ; 0x0
	.long	0                               ; 0x0
	;; [unrolled: 1-line block ×3, first 2 shown]
	.long	37767176                        ; 0x2404808
	.long	0                               ; 0x0
	.long	0                               ; 0x0
	.long	0                               ; 0x0
	.long	8392706                         ; 0x801002
	.long	0                               ; 0x0
	.long	0                               ; 0x0
	;; [unrolled: 1-line block ×3, first 2 shown]
	.long	16785412                        ; 0x1002004
	.long	0                               ; 0x0
	.long	0                               ; 0x0
	;; [unrolled: 1-line block ×3, first 2 shown]
	.long	33570825                        ; 0x2004009
	.long	0                               ; 0x0
	.long	0                               ; 0x0
	;; [unrolled: 1-line block ×4, first 2 shown]
	.long	2499687121                      ; 0x94fe32d1
	.long	0                               ; 0x0
	.long	0                               ; 0x0
	;; [unrolled: 1-line block ×3, first 2 shown]
	.long	704406946                       ; 0x29fc65a2
	.long	0                               ; 0x0
	.long	0                               ; 0x0
	.long	0                               ; 0x0
	.long	1408813893                      ; 0x53f8cb45
	.long	0                               ; 0x0
	.long	0                               ; 0x0
	.long	0                               ; 0x0
	.long	2817627786                      ; 0xa7f1968a
	;; [unrolled: 4-line block ×13, first 2 shown]
	.long	0                               ; 0x0
	.long	0                               ; 0x0
	;; [unrolled: 1-line block ×3, first 2 shown]
	.long	426290034                       ; 0x1968ab72
	.long	0                               ; 0x0
	.long	0                               ; 0x0
	;; [unrolled: 1-line block ×3, first 2 shown]
	.long	852580069                       ; 0x32d156e5
	.long	0                               ; 0x0
	.long	0                               ; 0x0
	.long	0                               ; 0x0
	.long	1705160138                      ; 0x65a2adca
	.long	0                               ; 0x0
	.long	0                               ; 0x0
	.long	0                               ; 0x0
	.long	3410320276                      ; 0xcb455b94
	;; [unrolled: 4-line block ×3, first 2 shown]
	.long	0                               ; 0x0
	.long	0                               ; 0x0
	;; [unrolled: 1-line block ×3, first 2 shown]
	.long	756379216                       ; 0x2d156e50
	.long	0                               ; 0x0
	.long	0                               ; 0x0
	.long	0                               ; 0x0
	.long	1512758433                      ; 0x5a2adca1
	.long	0                               ; 0x0
	.long	0                               ; 0x0
	.long	0                               ; 0x0
	.long	3025516867                      ; 0xb455b943
	;; [unrolled: 4-line block ×4, first 2 shown]
	.long	0                               ; 0x0
	.long	0                               ; 0x0
	;; [unrolled: 1-line block ×3, first 2 shown]
	.long	911472843                       ; 0x3653f8cb
	.long	0                               ; 0x0
	.long	0                               ; 0x0
	.long	0                               ; 0x0
	.long	1822945686                      ; 0x6ca7f196
	.long	0                               ; 0x0
	.long	0                               ; 0x0
	.long	0                               ; 0x0
	.long	3645891373                      ; 0xd94fe32d
	;; [unrolled: 4-line block ×5, first 2 shown]
	.long	0                               ; 0x0
	.long	0                               ; 0x0
	.long	0                               ; 0x0
	.long	0                               ; 0x0
	.long	0                               ; 0x0
	.long	0                               ; 0x0
	.long	0                               ; 0x0
	.long	0                               ; 0x0
	.long	0                               ; 0x0
	.long	0                               ; 0x0
	.long	0                               ; 0x0
	.long	0                               ; 0x0
	.long	0                               ; 0x0
	.long	0                               ; 0x0
	.long	0                               ; 0x0
	.long	0                               ; 0x0
	.long	1432822912                      ; 0x55672480
	.long	0                               ; 0x0
	.long	0                               ; 0x0
	.long	0                               ; 0x0
	.long	2865645824                      ; 0xaace4900
	.long	0                               ; 0x0
	.long	0                               ; 0x0
	.long	0                               ; 0x0
	;; [unrolled: 4-line block ×11, first 2 shown]
	.long	958660670                       ; 0x3924003e
	.long	0                               ; 0x0
	.long	0                               ; 0x0
	.long	0                               ; 0x0
	.long	1917321341                      ; 0x7248007d
	.long	0                               ; 0x0
	.long	0                               ; 0x0
	.long	0                               ; 0x0
	.long	3834642683                      ; 0xe49000fb
	;; [unrolled: 4-line block ×4, first 2 shown]
	.long	0                               ; 0x0
	.long	0                               ; 0x0
	.long	0                               ; 0x0
	.long	612370397                       ; 0x248007dd
	.long	0                               ; 0x0
	.long	0                               ; 0x0
	.long	0                               ; 0x0
	.long	1224740795                      ; 0x49000fbb
	.long	0                               ; 0x0
	.long	0                               ; 0x0
	.long	0                               ; 0x0
	.long	2449481590                      ; 0x92001f76
	.long	0                               ; 0x0
	.long	0                               ; 0x0
	.long	0                               ; 0x0
	.long	603995885                       ; 0x24003eed
	.long	0                               ; 0x0
	.long	0                               ; 0x0
	.long	0                               ; 0x0
	.long	1207991771                      ; 0x48007ddb
	.long	0                               ; 0x0
	.long	0                               ; 0x0
	.long	0                               ; 0x0
	.long	2415983542                      ; 0x9000fbb6
	;; [unrolled: 12-line block ×3, first 2 shown]
	.long	0                               ; 0x0
	.long	0                               ; 0x0
	;; [unrolled: 1-line block ×3, first 2 shown]
	.long	1031016                         ; 0xfbb68
	.long	0                               ; 0x0
	.long	0                               ; 0x0
	;; [unrolled: 1-line block ×3, first 2 shown]
	.long	2062032                         ; 0x1f76d0
	.long	0                               ; 0x0
	.long	0                               ; 0x0
	;; [unrolled: 1-line block ×3, first 2 shown]
	.long	1431947552                      ; 0x5559c920
	.long	0                               ; 0x0
	.long	0                               ; 0x0
	;; [unrolled: 1-line block ×3, first 2 shown]
	.long	2863895104                      ; 0xaab39240
	.long	0                               ; 0x0
	.long	0                               ; 0x0
	;; [unrolled: 1-line block ×20, first 2 shown]
	.long	2656366736                      ; 0x9e54f090
	.long	0                               ; 0x0
	.long	0                               ; 0x0
	.long	0                               ; 0x0
	.long	1017766176                      ; 0x3ca9e120
	.long	0                               ; 0x0
	.long	0                               ; 0x0
	.long	0                               ; 0x0
	;; [unrolled: 4-line block ×7, first 2 shown]
	.long	712525826                       ; 0x2a784802
	.long	0                               ; 0x0
	.long	0                               ; 0x0
	.long	0                               ; 0x0
	.long	1425051652                      ; 0x54f09004
	.long	0                               ; 0x0
	.long	0                               ; 0x0
	.long	0                               ; 0x0
	.long	2850103304                      ; 0xa9e12008
	;; [unrolled: 4-line block ×10, first 2 shown]
	.long	0                               ; 0x0
	.long	0                               ; 0x0
	.long	0                               ; 0x0
	.long	820483388                       ; 0x30e7953c
	.long	0                               ; 0x0
	.long	0                               ; 0x0
	.long	0                               ; 0x0
	.long	1640966776                      ; 0x61cf2a78
	.long	0                               ; 0x0
	.long	0                               ; 0x0
	.long	0                               ; 0x0
	.long	3281933552                      ; 0xc39e54f0
	;; [unrolled: 4-line block ×3, first 2 shown]
	.long	0                               ; 0x0
	.long	0                               ; 0x0
	.long	0                               ; 0x0
	.long	242832322                       ; 0xe7953c2
	.long	0                               ; 0x0
	.long	0                               ; 0x0
	.long	0                               ; 0x0
	.long	485664644                       ; 0x1cf2a784
	;; [unrolled: 4-line block ×3, first 2 shown]
	.long	0                               ; 0x0
	.long	0                               ; 0x0
	.long	0                               ; 0x0
	.long	1942658578                      ; 0x73ca9e12
	.long	0                               ; 0x0
	.long	0                               ; 0x0
	.long	0                               ; 0x0
	.long	3885317156                      ; 0xe7953c24
	;; [unrolled: 4-line block ×3, first 2 shown]
	.long	0                               ; 0x0
	.long	0                               ; 0x0
	;; [unrolled: 1-line block ×32, first 2 shown]
	.long	2304                            ; 0x900
	.long	0                               ; 0x0
	.long	0                               ; 0x0
	.long	0                               ; 0x0
	.long	4608                            ; 0x1200
	.long	0                               ; 0x0
	.long	0                               ; 0x0
	.long	0                               ; 0x0
	;; [unrolled: 4-line block ×3, first 2 shown]
	.long	18432                           ; 0x4800
	.long	0                               ; 0x0
	.long	0                               ; 0x0
	.long	0                               ; 0x0
	.long	36864                           ; 0x9000
	.long	0                               ; 0x0
	.long	0                               ; 0x0
	.long	0                               ; 0x0
	;; [unrolled: 4-line block ×3, first 2 shown]
	.long	147456                          ; 0x24000
	.long	0                               ; 0x0
	.long	0                               ; 0x0
	.long	0                               ; 0x0
	.long	294912                          ; 0x48000
	.long	0                               ; 0x0
	.long	0                               ; 0x0
	.long	0                               ; 0x0
	;; [unrolled: 4-line block ×3, first 2 shown]
	.long	1179648                         ; 0x120000
	.long	0                               ; 0x0
	.long	0                               ; 0x0
	.long	0                               ; 0x0
	.long	2359296                         ; 0x240000
	.long	0                               ; 0x0
	.long	0                               ; 0x0
	.long	0                               ; 0x0
	;; [unrolled: 4-line block ×4, first 2 shown]
	.long	18874372                        ; 0x1200004
	.long	0                               ; 0x0
	.long	0                               ; 0x0
	.long	0                               ; 0x0
	.long	37748744                        ; 0x2400008
	.long	0                               ; 0x0
	.long	0                               ; 0x0
	.long	0                               ; 0x0
	;; [unrolled: 4-line block ×3, first 2 shown]
	.long	150994976                       ; 0x9000020
	.long	0                               ; 0x0
	.long	0                               ; 0x0
	.long	0                               ; 0x0
	.long	301989953                       ; 0x12000041
	.long	0                               ; 0x0
	.long	0                               ; 0x0
	.long	0                               ; 0x0
	;; [unrolled: 4-line block ×3, first 2 shown]
	.long	1207959812                      ; 0x48000104
	.long	0                               ; 0x0
	.long	0                               ; 0x0
	;; [unrolled: 1-line block ×3, first 2 shown]
	.long	2415919624                      ; 0x90000208
	.long	0                               ; 0x0
	.long	0                               ; 0x0
	;; [unrolled: 1-line block ×3, first 2 shown]
	.long	536871952                       ; 0x20000410
	.long	0                               ; 0x0
	.long	0                               ; 0x0
	;; [unrolled: 1-line block ×3, first 2 shown]
	.long	1073742112                      ; 0x40000120
	.long	0                               ; 0x0
	.long	0                               ; 0x0
	;; [unrolled: 1-line block ×3, first 2 shown]
	.long	2147484224                      ; 0x80000240
	.long	0                               ; 0x0
	.long	0                               ; 0x0
	;; [unrolled: 1-line block ×3, first 2 shown]
	.long	1152                            ; 0x480
	.long	0                               ; 0x0
	.long	0                               ; 0x0
	;; [unrolled: 1-line block ×4, first 2 shown]
	.long	2271571420                      ; 0x87656ddc
	.long	0                               ; 0x0
	.long	0                               ; 0x0
	.long	0                               ; 0x0
	.long	248175545                       ; 0xecadbb9
	.long	0                               ; 0x0
	.long	0                               ; 0x0
	.long	0                               ; 0x0
	.long	496351090                       ; 0x1d95b772
	;; [unrolled: 4-line block ×3, first 2 shown]
	.long	0                               ; 0x0
	.long	0                               ; 0x0
	.long	0                               ; 0x0
	.long	1985404363                      ; 0x7656ddcb
	.long	0                               ; 0x0
	.long	0                               ; 0x0
	.long	0                               ; 0x0
	.long	3970808727                      ; 0xecadbb97
	;; [unrolled: 4-line block ×7, first 2 shown]
	.long	0                               ; 0x0
	.long	0                               ; 0x0
	;; [unrolled: 1-line block ×3, first 2 shown]
	.long	728688099                       ; 0x2b6ee5e3
	.long	0                               ; 0x0
	.long	0                               ; 0x0
	.long	0                               ; 0x0
	.long	1457376199                      ; 0x56ddcbc7
	.long	0                               ; 0x0
	.long	0                               ; 0x0
	.long	0                               ; 0x0
	.long	2914752399                      ; 0xadbb978f
	;; [unrolled: 4-line block ×19, first 2 shown]
	.long	0                               ; 0x0
	.long	0                               ; 0x0
	;; [unrolled: 1-line block ×16, first 2 shown]
	.long	2740852545                      ; 0xa35e1741
	.long	0                               ; 0x0
	.long	0                               ; 0x0
	.long	0                               ; 0x0
	.long	1186737794                      ; 0x46bc2e82
	.long	0                               ; 0x0
	.long	0                               ; 0x0
	.long	0                               ; 0x0
	;; [unrolled: 4-line block ×3, first 2 shown]
	.long	451983883                       ; 0x1af0ba0b
	.long	0                               ; 0x0
	.long	0                               ; 0x0
	;; [unrolled: 1-line block ×3, first 2 shown]
	.long	903967767                       ; 0x35e17417
	.long	0                               ; 0x0
	.long	0                               ; 0x0
	.long	0                               ; 0x0
	.long	1807935534                      ; 0x6bc2e82e
	.long	0                               ; 0x0
	.long	0                               ; 0x0
	.long	0                               ; 0x0
	.long	3615871068                      ; 0xd785d05c
	;; [unrolled: 4-line block ×10, first 2 shown]
	.long	0                               ; 0x0
	.long	0                               ; 0x0
	.long	0                               ; 0x0
	.long	195082393                       ; 0xba0b899
	.long	0                               ; 0x0
	.long	0                               ; 0x0
	.long	0                               ; 0x0
	.long	390164786                       ; 0x17417132
	;; [unrolled: 4-line block ×3, first 2 shown]
	.long	0                               ; 0x0
	.long	0                               ; 0x0
	.long	0                               ; 0x0
	.long	1560659145                      ; 0x5d05c4c9
	.long	0                               ; 0x0
	.long	0                               ; 0x0
	.long	0                               ; 0x0
	.long	3121318290                      ; 0xba0b8992
	;; [unrolled: 4-line block ×8, first 2 shown]
	.long	0                               ; 0x0
	.long	0                               ; 0x0
	;; [unrolled: 1-line block ×3, first 2 shown]
	.long	96782664                        ; 0x5c4c948
	.long	0                               ; 0x0
	.long	0                               ; 0x0
	;; [unrolled: 1-line block ×3, first 2 shown]
	.long	2832696784                      ; 0xa8d785d0
	.long	0                               ; 0x0
	.long	0                               ; 0x0
	;; [unrolled: 1-line block ×3, first 2 shown]
	.long	1370426272                      ; 0x51af0ba0
	.long	0                               ; 0x0
	.long	0                               ; 0x0
	;; [unrolled: 1-line block ×20, first 2 shown]
	.long	2424557694                      ; 0x9083d07e
	.long	0                               ; 0x0
	.long	0                               ; 0x0
	.long	0                               ; 0x0
	.long	554148093                       ; 0x2107a0fd
	.long	0                               ; 0x0
	.long	0                               ; 0x0
	;; [unrolled: 1-line block ×3, first 2 shown]
	.long	1108296186                      ; 0x420f41fa
	.long	0                               ; 0x0
	.long	0                               ; 0x0
	;; [unrolled: 1-line block ×3, first 2 shown]
	.long	2216592373                      ; 0x841e83f5
	.long	0                               ; 0x0
	.long	0                               ; 0x0
	.long	0                               ; 0x0
	.long	138217450                       ; 0x83d07ea
	.long	0                               ; 0x0
	.long	0                               ; 0x0
	.long	0                               ; 0x0
	.long	276434901                       ; 0x107a0fd5
	;; [unrolled: 4-line block ×3, first 2 shown]
	.long	0                               ; 0x0
	.long	0                               ; 0x0
	;; [unrolled: 1-line block ×3, first 2 shown]
	.long	1105739604                      ; 0x41e83f54
	.long	0                               ; 0x0
	.long	0                               ; 0x0
	;; [unrolled: 1-line block ×3, first 2 shown]
	.long	2211479208                      ; 0x83d07ea8
	.long	0                               ; 0x0
	.long	0                               ; 0x0
	.long	0                               ; 0x0
	.long	127991121                       ; 0x7a0fd51
	.long	0                               ; 0x0
	.long	0                               ; 0x0
	.long	0                               ; 0x0
	.long	255982243                       ; 0xf41faa3
	;; [unrolled: 4-line block ×3, first 2 shown]
	.long	0                               ; 0x0
	.long	0                               ; 0x0
	.long	0                               ; 0x0
	.long	1023928972                      ; 0x3d07ea8c
	.long	0                               ; 0x0
	.long	0                               ; 0x0
	.long	0                               ; 0x0
	.long	2047857944                      ; 0x7a0fd518
	;; [unrolled: 4-line block ×8, first 2 shown]
	.long	0                               ; 0x0
	.long	0                               ; 0x0
	;; [unrolled: 1-line block ×3, first 2 shown]
	.long	395346896                       ; 0x179083d0
	.long	0                               ; 0x0
	.long	0                               ; 0x0
	;; [unrolled: 1-line block ×3, first 2 shown]
	.long	790693792                       ; 0x2f2107a0
	.long	0                               ; 0x0
	.long	0                               ; 0x0
	.long	0                               ; 0x0
	.long	1581387585                      ; 0x5e420f41
	.long	0                               ; 0x0
	.long	0                               ; 0x0
	.long	0                               ; 0x0
	.long	3162775171                      ; 0xbc841e83
	;; [unrolled: 4-line block ×6, first 2 shown]
	.long	0                               ; 0x0
	.long	0                               ; 0x0
	;; [unrolled: 1-line block ×32, first 2 shown]
	.long	8390658                         ; 0x800802
	.long	0                               ; 0x0
	.long	0                               ; 0x0
	.long	0                               ; 0x0
	.long	16781316                        ; 0x1001004
	.long	0                               ; 0x0
	.long	0                               ; 0x0
	.long	0                               ; 0x0
	.long	33562633                        ; 0x2002009
	;; [unrolled: 4-line block ×3, first 2 shown]
	.long	0                               ; 0x0
	.long	0                               ; 0x0
	.long	0                               ; 0x0
	.long	134250532                       ; 0x8008024
	.long	0                               ; 0x0
	.long	0                               ; 0x0
	.long	0                               ; 0x0
	.long	268501064                       ; 0x10010048
	;; [unrolled: 4-line block ×3, first 2 shown]
	.long	0                               ; 0x0
	.long	0                               ; 0x0
	;; [unrolled: 1-line block ×3, first 2 shown]
	.long	1074004256                      ; 0x40040120
	.long	0                               ; 0x0
	.long	0                               ; 0x0
	;; [unrolled: 1-line block ×3, first 2 shown]
	.long	2148008512                      ; 0x80080240
	.long	0                               ; 0x0
	.long	0                               ; 0x0
	.long	0                               ; 0x0
	.long	1049728                         ; 0x100480
	.long	0                               ; 0x0
	.long	0                               ; 0x0
	.long	0                               ; 0x0
	.long	2099456                         ; 0x200900
	;; [unrolled: 4-line block ×4, first 2 shown]
	.long	0                               ; 0x0
	.long	0                               ; 0x0
	.long	0                               ; 0x0
	.long	16795652                        ; 0x1004804
	.long	0                               ; 0x0
	.long	0                               ; 0x0
	.long	0                               ; 0x0
	.long	33591305                        ; 0x2009009
	;; [unrolled: 4-line block ×3, first 2 shown]
	.long	0                               ; 0x0
	.long	0                               ; 0x0
	.long	0                               ; 0x0
	.long	134365220                       ; 0x8024024
	.long	0                               ; 0x0
	.long	0                               ; 0x0
	.long	0                               ; 0x0
	.long	268730440                       ; 0x10048048
	;; [unrolled: 4-line block ×3, first 2 shown]
	.long	0                               ; 0x0
	.long	0                               ; 0x0
	.long	0                               ; 0x0
	.long	1074921760                      ; 0x40120120
	.long	0                               ; 0x0
	.long	0                               ; 0x0
	;; [unrolled: 1-line block ×3, first 2 shown]
	.long	2149843520                      ; 0x80240240
	.long	0                               ; 0x0
	.long	0                               ; 0x0
	.long	0                               ; 0x0
	.long	4719745                         ; 0x480481
	.long	0                               ; 0x0
	.long	0                               ; 0x0
	.long	0                               ; 0x0
	.long	1048832                         ; 0x100100
	;; [unrolled: 4-line block ×4, first 2 shown]
	.long	0                               ; 0x0
	.long	0                               ; 0x0
	;; [unrolled: 1-line block ×4, first 2 shown]
	.long	1739616249                      ; 0x67b06ff9
	.long	0                               ; 0x0
	.long	0                               ; 0x0
	.long	0                               ; 0x0
	.long	3479232498                      ; 0xcf60dff2
	.long	0                               ; 0x0
	.long	0                               ; 0x0
	.long	0                               ; 0x0
	;; [unrolled: 4-line block ×12, first 2 shown]
	.long	117412213                       ; 0x6ff9175
	.long	0                               ; 0x0
	.long	0                               ; 0x0
	.long	0                               ; 0x0
	.long	234824426                       ; 0xdff22ea
	.long	0                               ; 0x0
	.long	0                               ; 0x0
	.long	0                               ; 0x0
	;; [unrolled: 4-line block ×4, first 2 shown]
	.long	1878595415                      ; 0x6ff91757
	.long	0                               ; 0x0
	.long	0                               ; 0x0
	.long	0                               ; 0x0
	.long	3757190830                      ; 0xdff22eae
	.long	0                               ; 0x0
	.long	0                               ; 0x0
	.long	0                               ; 0x0
	;; [unrolled: 4-line block ×10, first 2 shown]
	.long	725451647                       ; 0x2b3d837f
	.long	0                               ; 0x0
	.long	0                               ; 0x0
	.long	0                               ; 0x0
	.long	1450903295                      ; 0x567b06ff
	.long	0                               ; 0x0
	.long	0                               ; 0x0
	.long	0                               ; 0x0
	.long	2901806591                      ; 0xacf60dff
	;; [unrolled: 4-line block ×4, first 2 shown]
	.long	0                               ; 0x0
	.long	0                               ; 0x0
	;; [unrolled: 1-line block ×16, first 2 shown]
	.long	3220345106                      ; 0xbff29112
	.long	0                               ; 0x0
	.long	0                               ; 0x0
	.long	0                               ; 0x0
	.long	2145722916                      ; 0x7fe52224
	.long	0                               ; 0x0
	.long	0                               ; 0x0
	.long	0                               ; 0x0
	;; [unrolled: 4-line block ×12, first 2 shown]
	.long	688988188                       ; 0x2911201c
	.long	0                               ; 0x0
	.long	0                               ; 0x0
	.long	0                               ; 0x0
	.long	1377976376                      ; 0x52224038
	.long	0                               ; 0x0
	.long	0                               ; 0x0
	.long	0                               ; 0x0
	.long	2755952753                      ; 0xa4448071
	;; [unrolled: 4-line block ×4, first 2 shown]
	.long	0                               ; 0x0
	.long	0                               ; 0x0
	;; [unrolled: 1-line block ×3, first 2 shown]
	.long	572785549                       ; 0x2224038d
	.long	0                               ; 0x0
	.long	0                               ; 0x0
	;; [unrolled: 1-line block ×3, first 2 shown]
	.long	1145571098                      ; 0x4448071a
	.long	0                               ; 0x0
	.long	0                               ; 0x0
	;; [unrolled: 1-line block ×3, first 2 shown]
	.long	2291142197                      ; 0x88900e35
	.long	0                               ; 0x0
	.long	0                               ; 0x0
	;; [unrolled: 1-line block ×3, first 2 shown]
	.long	287317098                       ; 0x11201c6a
	.long	0                               ; 0x0
	.long	0                               ; 0x0
	;; [unrolled: 1-line block ×3, first 2 shown]
	.long	574634197                       ; 0x224038d5
	.long	0                               ; 0x0
	.long	0                               ; 0x0
	;; [unrolled: 1-line block ×3, first 2 shown]
	.long	1149268394                      ; 0x448071aa
	.long	0                               ; 0x0
	.long	0                               ; 0x0
	;; [unrolled: 1-line block ×3, first 2 shown]
	.long	2298536789                      ; 0x8900e355
	.long	0                               ; 0x0
	.long	0                               ; 0x0
	;; [unrolled: 1-line block ×3, first 2 shown]
	.long	302106282                       ; 0x1201c6aa
	.long	0                               ; 0x0
	.long	0                               ; 0x0
	;; [unrolled: 1-line block ×3, first 2 shown]
	.long	604212565                       ; 0x24038d55
	.long	0                               ; 0x0
	.long	0                               ; 0x0
	;; [unrolled: 1-line block ×3, first 2 shown]
	.long	1208425131                      ; 0x48071aab
	.long	0                               ; 0x0
	.long	0                               ; 0x0
	;; [unrolled: 1-line block ×3, first 2 shown]
	.long	805086276                       ; 0x2ffca444
	.long	0                               ; 0x0
	.long	0                               ; 0x0
	;; [unrolled: 1-line block ×3, first 2 shown]
	.long	1610172553                      ; 0x5ff94889
	.long	0                               ; 0x0
	.long	0                               ; 0x0
	;; [unrolled: 1-line block ×20, first 2 shown]
	.long	70539992                        ; 0x4345ad8
	.long	0                               ; 0x0
	.long	0                               ; 0x0
	.long	0                               ; 0x0
	.long	141079985                       ; 0x868b5b1
	.long	0                               ; 0x0
	.long	0                               ; 0x0
	.long	0                               ; 0x0
	.long	282159971                       ; 0x10d16b63
	;; [unrolled: 4-line block ×3, first 2 shown]
	.long	0                               ; 0x0
	.long	0                               ; 0x0
	;; [unrolled: 1-line block ×3, first 2 shown]
	.long	1128639887                      ; 0x4345ad8f
	.long	0                               ; 0x0
	.long	0                               ; 0x0
	.long	0                               ; 0x0
	.long	2257279774                      ; 0x868b5b1e
	.long	0                               ; 0x0
	.long	0                               ; 0x0
	.long	0                               ; 0x0
	.long	219592253                       ; 0xd16b63d
	.long	0                               ; 0x0
	.long	0                               ; 0x0
	.long	0                               ; 0x0
	.long	439184507                       ; 0x1a2d6c7b
	.long	0                               ; 0x0
	.long	0                               ; 0x0
	.long	0                               ; 0x0
	.long	878369014                       ; 0x345ad8f6
	.long	0                               ; 0x0
	.long	0                               ; 0x0
	.long	0                               ; 0x0
	.long	1756738029                      ; 0x68b5b1ed
	.long	0                               ; 0x0
	.long	0                               ; 0x0
	.long	0                               ; 0x0
	.long	3513476059                      ; 0xd16b63db
	;; [unrolled: 4-line block ×5, first 2 shown]
	.long	0                               ; 0x0
	.long	0                               ; 0x0
	;; [unrolled: 1-line block ×3, first 2 shown]
	.long	381042109                       ; 0x16b63dbd
	.long	0                               ; 0x0
	.long	0                               ; 0x0
	;; [unrolled: 1-line block ×3, first 2 shown]
	.long	693641634                       ; 0x295821a2
	.long	0                               ; 0x0
	.long	0                               ; 0x0
	.long	0                               ; 0x0
	.long	1387283269                      ; 0x52b04345
	.long	0                               ; 0x0
	.long	0                               ; 0x0
	.long	0                               ; 0x0
	.long	2774566539                      ; 0xa560868b
	;; [unrolled: 4-line block ×4, first 2 shown]
	.long	0                               ; 0x0
	.long	0                               ; 0x0
	;; [unrolled: 1-line block ×3, first 2 shown]
	.long	721695834                       ; 0x2b04345a
	.long	0                               ; 0x0
	.long	0                               ; 0x0
	.long	0                               ; 0x0
	.long	1443391669                      ; 0x560868b5
	.long	0                               ; 0x0
	.long	0                               ; 0x0
	.long	0                               ; 0x0
	.long	2886783339                      ; 0xac10d16b
	;; [unrolled: 4-line block ×7, first 2 shown]
	.long	0                               ; 0x0
	.long	0                               ; 0x0
	;; [unrolled: 1-line block ×32, first 2 shown]
	.long	144703526                       ; 0x8a00026
	.long	0                               ; 0x0
	.long	0                               ; 0x0
	.long	0                               ; 0x0
	.long	289407053                       ; 0x1140004d
	.long	0                               ; 0x0
	.long	0                               ; 0x0
	.long	0                               ; 0x0
	;; [unrolled: 4-line block ×3, first 2 shown]
	.long	1157628214                      ; 0x45000136
	.long	0                               ; 0x0
	.long	0                               ; 0x0
	.long	0                               ; 0x0
	.long	2315256429                      ; 0x8a00026d
	.long	0                               ; 0x0
	.long	0                               ; 0x0
	;; [unrolled: 1-line block ×3, first 2 shown]
	.long	335545562                       ; 0x140004da
	.long	0                               ; 0x0
	.long	0                               ; 0x0
	;; [unrolled: 1-line block ×3, first 2 shown]
	.long	671091124                       ; 0x280009b4
	.long	0                               ; 0x0
	.long	0                               ; 0x0
	.long	0                               ; 0x0
	.long	1342182248                      ; 0x50001368
	.long	0                               ; 0x0
	.long	0                               ; 0x0
	.long	0                               ; 0x0
	.long	2684364496                      ; 0xa00026d0
	;; [unrolled: 4-line block ×4, first 2 shown]
	.long	0                               ; 0x0
	.long	0                               ; 0x0
	;; [unrolled: 1-line block ×3, first 2 shown]
	.long	79488                           ; 0x13680
	.long	0                               ; 0x0
	.long	0                               ; 0x0
	.long	0                               ; 0x0
	.long	158976                          ; 0x26d00
	.long	0                               ; 0x0
	.long	0                               ; 0x0
	.long	0                               ; 0x0
	.long	317952                          ; 0x4da00
	;; [unrolled: 4-line block ×3, first 2 shown]
	.long	0                               ; 0x0
	.long	0                               ; 0x0
	.long	0                               ; 0x0
	.long	1271808                         ; 0x136800
	.long	0                               ; 0x0
	.long	0                               ; 0x0
	.long	0                               ; 0x0
	.long	2543616                         ; 0x26d000
	;; [unrolled: 4-line block ×3, first 2 shown]
	.long	0                               ; 0x0
	.long	0                               ; 0x0
	.long	0                               ; 0x0
	.long	10174466                        ; 0x9b4002
	.long	0                               ; 0x0
	.long	0                               ; 0x0
	.long	0                               ; 0x0
	.long	20348932                        ; 0x1368004
	;; [unrolled: 4-line block ×7, first 2 shown]
	.long	0                               ; 0x0
	.long	0                               ; 0x0
	.long	0                               ; 0x0
	.long	0                               ; 0x0
	.long	1915396941                      ; 0x722aa34d
	.long	0                               ; 0x0
	.long	0                               ; 0x0
	.long	0                               ; 0x0
	.long	3830793883                      ; 0xe455469b
	.long	0                               ; 0x0
	.long	0                               ; 0x0
	.long	0                               ; 0x0
	;; [unrolled: 4-line block ×4, first 2 shown]
	.long	581579999                       ; 0x22aa34df
	.long	0                               ; 0x0
	.long	0                               ; 0x0
	;; [unrolled: 1-line block ×3, first 2 shown]
	.long	1163159998                      ; 0x455469be
	.long	0                               ; 0x0
	.long	0                               ; 0x0
	;; [unrolled: 1-line block ×3, first 2 shown]
	.long	2326319996                      ; 0x8aa8d37c
	.long	0                               ; 0x0
	.long	0                               ; 0x0
	;; [unrolled: 1-line block ×3, first 2 shown]
	.long	357672696                       ; 0x1551a6f8
	.long	0                               ; 0x0
	.long	0                               ; 0x0
	;; [unrolled: 1-line block ×3, first 2 shown]
	.long	715345393                       ; 0x2aa34df1
	.long	0                               ; 0x0
	.long	0                               ; 0x0
	.long	0                               ; 0x0
	.long	1430690786                      ; 0x55469be2
	.long	0                               ; 0x0
	.long	0                               ; 0x0
	.long	0                               ; 0x0
	.long	2861381572                      ; 0xaa8d37c4
	;; [unrolled: 4-line block ×10, first 2 shown]
	.long	0                               ; 0x0
	.long	0                               ; 0x0
	;; [unrolled: 1-line block ×3, first 2 shown]
	.long	443516967                       ; 0x1a6f8827
	.long	0                               ; 0x0
	.long	0                               ; 0x0
	;; [unrolled: 1-line block ×3, first 2 shown]
	.long	887033934                       ; 0x34df104e
	.long	0                               ; 0x0
	.long	0                               ; 0x0
	.long	0                               ; 0x0
	.long	1774067868                      ; 0x69be209c
	.long	0                               ; 0x0
	.long	0                               ; 0x0
	.long	0                               ; 0x0
	.long	3548135736                      ; 0xd37c4138
	;; [unrolled: 4-line block ×9, first 2 shown]
	.long	0                               ; 0x0
	.long	0                               ; 0x0
	;; [unrolled: 1-line block ×3, first 2 shown]
	.long	957698470                       ; 0x391551a6
	.long	0                               ; 0x0
	.long	0                               ; 0x0
	.long	0                               ; 0x0
	.long	0                               ; 0x0
	.long	0                               ; 0x0
	.long	0                               ; 0x0
	.long	0                               ; 0x0
	.long	0                               ; 0x0
	.long	0                               ; 0x0
	.long	0                               ; 0x0
	.long	0                               ; 0x0
	.long	0                               ; 0x0
	.long	0                               ; 0x0
	.long	0                               ; 0x0
	.long	0                               ; 0x0
	.long	0                               ; 0x0
	.long	348140706                       ; 0x14c034a2
	.long	0                               ; 0x0
	.long	0                               ; 0x0
	;; [unrolled: 1-line block ×3, first 2 shown]
	.long	696281412                       ; 0x29806944
	.long	0                               ; 0x0
	.long	0                               ; 0x0
	.long	0                               ; 0x0
	.long	1392562824                      ; 0x5300d288
	.long	0                               ; 0x0
	.long	0                               ; 0x0
	.long	0                               ; 0x0
	.long	2785125649                      ; 0xa601a511
	;; [unrolled: 4-line block ×4, first 2 shown]
	.long	0                               ; 0x0
	.long	0                               ; 0x0
	;; [unrolled: 1-line block ×3, first 2 shown]
	.long	806168719                       ; 0x300d288f
	.long	0                               ; 0x0
	.long	0                               ; 0x0
	.long	0                               ; 0x0
	.long	1612337439                      ; 0x601a511f
	.long	0                               ; 0x0
	.long	0                               ; 0x0
	.long	0                               ; 0x0
	.long	3224674878                      ; 0xc034a23e
	;; [unrolled: 4-line block ×3, first 2 shown]
	.long	0                               ; 0x0
	.long	0                               ; 0x0
	.long	0                               ; 0x0
	.long	13797624                        ; 0xd288f8
	.long	0                               ; 0x0
	.long	0                               ; 0x0
	.long	0                               ; 0x0
	.long	27595248                        ; 0x1a511f0
	;; [unrolled: 4-line block ×3, first 2 shown]
	.long	0                               ; 0x0
	.long	0                               ; 0x0
	.long	0                               ; 0x0
	.long	110380992                       ; 0x69447c0
	.long	0                               ; 0x0
	.long	0                               ; 0x0
	.long	0                               ; 0x0
	.long	220761985                       ; 0xd288f81
	;; [unrolled: 4-line block ×4, first 2 shown]
	.long	0                               ; 0x0
	.long	0                               ; 0x0
	.long	0                               ; 0x0
	.long	1766095886                      ; 0x69447c0e
	.long	0                               ; 0x0
	.long	0                               ; 0x0
	.long	0                               ; 0x0
	.long	3532191772                      ; 0xd288f81c
	.long	0                               ; 0x0
	.long	0                               ; 0x0
	.long	0                               ; 0x0
	.long	2769416249                      ; 0xa511f039
	.long	0                               ; 0x0
	.long	0                               ; 0x0
	.long	0                               ; 0x0
	.long	1243865203                      ; 0x4a23e073
	.long	0                               ; 0x0
	.long	0                               ; 0x0
	.long	0                               ; 0x0
	.long	2487730406                      ; 0x9447c0e6
	.long	0                               ; 0x0
	.long	0                               ; 0x0
	;; [unrolled: 1-line block ×3, first 2 shown]
	.long	680493516                       ; 0x288f81cc
	.long	0                               ; 0x0
	.long	0                               ; 0x0
	.long	0                               ; 0x0
	.long	1360987032                      ; 0x511f0398
	.long	0                               ; 0x0
	.long	0                               ; 0x0
	.long	0                               ; 0x0
	.long	2721974065                      ; 0xa23e0731
	;; [unrolled: 4-line block ×4, first 2 shown]
	.long	0                               ; 0x0
	.long	0                               ; 0x0
	;; [unrolled: 1-line block ×3, first 2 shown]
	.long	87035176                        ; 0x5300d28
	.long	0                               ; 0x0
	.long	0                               ; 0x0
	;; [unrolled: 1-line block ×3, first 2 shown]
	.long	174070353                       ; 0xa601a51
	.long	0                               ; 0x0
	.long	0                               ; 0x0
	;; [unrolled: 1-line block ×20, first 2 shown]
	.long	1770227281                      ; 0x69838651
	.long	0                               ; 0x0
	.long	0                               ; 0x0
	.long	0                               ; 0x0
	.long	3540454563                      ; 0xd3070ca3
	.long	0                               ; 0x0
	.long	0                               ; 0x0
	.long	0                               ; 0x0
	;; [unrolled: 4-line block ×5, first 2 shown]
	.long	812698162                       ; 0x3070ca32
	.long	0                               ; 0x0
	.long	0                               ; 0x0
	.long	0                               ; 0x0
	.long	1625396325                      ; 0x60e19465
	.long	0                               ; 0x0
	.long	0                               ; 0x0
	.long	0                               ; 0x0
	.long	3250792650                      ; 0xc1c328ca
	;; [unrolled: 4-line block ×3, first 2 shown]
	.long	0                               ; 0x0
	.long	0                               ; 0x0
	.long	0                               ; 0x0
	.long	118268713                       ; 0x70ca329
	.long	0                               ; 0x0
	.long	0                               ; 0x0
	.long	0                               ; 0x0
	.long	236537426                       ; 0xe194652
	;; [unrolled: 4-line block ×4, first 2 shown]
	.long	0                               ; 0x0
	.long	0                               ; 0x0
	.long	0                               ; 0x0
	.long	1892299411                      ; 0x70ca3293
	.long	0                               ; 0x0
	.long	0                               ; 0x0
	.long	0                               ; 0x0
	.long	3784598822                      ; 0xe1946526
	;; [unrolled: 4-line block ×15, first 2 shown]
	.long	0                               ; 0x0
	.long	0                               ; 0x0
	.long	0                               ; 0x0
	.long	0                               ; 0x0
	.long	0                               ; 0x0
	.long	0                               ; 0x0
	.long	0                               ; 0x0
	.long	0                               ; 0x0
	.long	0                               ; 0x0
	.long	0                               ; 0x0
	.long	0                               ; 0x0
	.long	0                               ; 0x0
	.long	0                               ; 0x0
	.long	0                               ; 0x0
	.long	0                               ; 0x0
	.long	0                               ; 0x0
	.long	0                               ; 0x0
	.long	0                               ; 0x0
	.long	0                               ; 0x0
	.long	0                               ; 0x0
	.long	0                               ; 0x0
	.long	0                               ; 0x0
	.long	0                               ; 0x0
	.long	0                               ; 0x0
	.long	0                               ; 0x0
	.long	0                               ; 0x0
	.long	0                               ; 0x0
	.long	0                               ; 0x0
	.long	0                               ; 0x0
	.long	0                               ; 0x0
	.long	0                               ; 0x0
	.long	0                               ; 0x0
	.long	135049252                       ; 0x80cb024
	.long	0                               ; 0x0
	.long	0                               ; 0x0
	.long	0                               ; 0x0
	.long	270098504                       ; 0x10196048
	.long	0                               ; 0x0
	.long	0                               ; 0x0
	.long	0                               ; 0x0
	.long	540197008                       ; 0x2032c090
	.long	0                               ; 0x0
	.long	0                               ; 0x0
	.long	0                               ; 0x0
	.long	1080394017                      ; 0x40658121
	.long	0                               ; 0x0
	.long	0                               ; 0x0
	;; [unrolled: 1-line block ×3, first 2 shown]
	.long	2160788035                      ; 0x80cb0243
	.long	0                               ; 0x0
	.long	0                               ; 0x0
	;; [unrolled: 1-line block ×3, first 2 shown]
	.long	26608774                        ; 0x1960486
	.long	0                               ; 0x0
	.long	0                               ; 0x0
	;; [unrolled: 1-line block ×3, first 2 shown]
	.long	53217549                        ; 0x32c090d
	.long	0                               ; 0x0
	.long	0                               ; 0x0
	.long	0                               ; 0x0
	.long	106435098                       ; 0x658121a
	.long	0                               ; 0x0
	.long	0                               ; 0x0
	.long	0                               ; 0x0
	.long	212870196                       ; 0xcb02434
	;; [unrolled: 4-line block ×4, first 2 shown]
	.long	0                               ; 0x0
	.long	0                               ; 0x0
	.long	0                               ; 0x0
	.long	1702961572                      ; 0x658121a4
	.long	0                               ; 0x0
	.long	0                               ; 0x0
	.long	0                               ; 0x0
	.long	3405923145                      ; 0xcb024349
	;; [unrolled: 4-line block ×3, first 2 shown]
	.long	0                               ; 0x0
	.long	0                               ; 0x0
	;; [unrolled: 1-line block ×3, first 2 shown]
	.long	738790694                       ; 0x2c090d26
	.long	0                               ; 0x0
	.long	0                               ; 0x0
	.long	0                               ; 0x0
	.long	1477581388                      ; 0x58121a4c
	.long	0                               ; 0x0
	.long	0                               ; 0x0
	.long	0                               ; 0x0
	.long	2955162776                      ; 0xb0243498
	;; [unrolled: 4-line block ×5, first 2 shown]
	.long	0                               ; 0x0
	.long	0                               ; 0x0
	.long	0                               ; 0x0
	.long	37964168                        ; 0x2434988
	.long	0                               ; 0x0
	.long	0                               ; 0x0
	.long	0                               ; 0x0
	.long	75928336                        ; 0x4869310
	.long	0                               ; 0x0
	.long	0                               ; 0x0
	.long	0                               ; 0x0
	.long	16881156                        ; 0x1019604
	.long	0                               ; 0x0
	.long	0                               ; 0x0
	.long	0                               ; 0x0
	.long	33762313                        ; 0x2032c09
	.long	0                               ; 0x0
	.long	0                               ; 0x0
	.long	0                               ; 0x0
	.long	67524626                        ; 0x4065812
	.long	0                               ; 0x0
	.long	0                               ; 0x0
	;; [unrolled: 1-line block ×4, first 2 shown]
	.long	4038889453                      ; 0xf0bc8fed
	.long	0                               ; 0x0
	.long	0                               ; 0x0
	.long	0                               ; 0x0
	.long	3782811611                      ; 0xe1791fdb
	.long	0                               ; 0x0
	.long	0                               ; 0x0
	.long	0                               ; 0x0
	;; [unrolled: 4-line block ×4, first 2 shown]
	.long	197721819                       ; 0xbc8fedb
	.long	0                               ; 0x0
	.long	0                               ; 0x0
	.long	0                               ; 0x0
	.long	395443639                       ; 0x1791fdb7
	.long	0                               ; 0x0
	.long	0                               ; 0x0
	.long	0                               ; 0x0
	;; [unrolled: 4-line block ×3, first 2 shown]
	.long	1581774559                      ; 0x5e47f6df
	.long	0                               ; 0x0
	.long	0                               ; 0x0
	.long	0                               ; 0x0
	.long	3163549119                      ; 0xbc8fedbf
	.long	0                               ; 0x0
	.long	0                               ; 0x0
	.long	0                               ; 0x0
	;; [unrolled: 4-line block ×7, first 2 shown]
	.long	603680719                       ; 0x23fb6fcf
	.long	0                               ; 0x0
	.long	0                               ; 0x0
	;; [unrolled: 1-line block ×3, first 2 shown]
	.long	1207361439                      ; 0x47f6df9f
	.long	0                               ; 0x0
	.long	0                               ; 0x0
	;; [unrolled: 1-line block ×3, first 2 shown]
	.long	2414722878                      ; 0x8fedbf3e
	.long	0                               ; 0x0
	.long	0                               ; 0x0
	;; [unrolled: 1-line block ×3, first 2 shown]
	.long	534478461                       ; 0x1fdb7e7d
	.long	0                               ; 0x0
	.long	0                               ; 0x0
	.long	0                               ; 0x0
	.long	1068956923                      ; 0x3fb6fcfb
	.long	0                               ; 0x0
	.long	0                               ; 0x0
	.long	0                               ; 0x0
	.long	2137913847                      ; 0x7f6df9f7
	.long	0                               ; 0x0
	.long	0                               ; 0x0
	.long	0                               ; 0x0
	.long	4275827694                      ; 0xfedbf3ee
	.long	0                               ; 0x0
	.long	0                               ; 0x0
	.long	0                               ; 0x0
	.long	4256688093                      ; 0xfdb7e7dd
	.long	0                               ; 0x0
	.long	0                               ; 0x0
	.long	0                               ; 0x0
	.long	4218408890                      ; 0xfb6fcfba
	.long	0                               ; 0x0
	.long	0                               ; 0x0
	.long	0                               ; 0x0
	.long	4141850484                      ; 0xf6df9f74
	.long	0                               ; 0x0
	.long	0                               ; 0x0
	.long	0                               ; 0x0
	.long	3988733673                      ; 0xedbf3ee9
	.long	0                               ; 0x0
	.long	0                               ; 0x0
	;; [unrolled: 1-line block ×3, first 2 shown]
	.long	734196287                       ; 0x2bc2f23f
	.long	0                               ; 0x0
	.long	0                               ; 0x0
	.long	0                               ; 0x0
	.long	1468392575                      ; 0x5785e47f
	.long	0                               ; 0x0
	.long	0                               ; 0x0
	.long	0                               ; 0x0
	.long	2936785150                      ; 0xaf0bc8fe
	;; [unrolled: 4-line block ×5, first 2 shown]
	.long	0                               ; 0x0
	.long	0                               ; 0x0
	;; [unrolled: 1-line block ×16, first 2 shown]
	.long	2692483345                      ; 0xa07c0911
	.long	0                               ; 0x0
	.long	0                               ; 0x0
	.long	0                               ; 0x0
	.long	1089999394                      ; 0x40f81222
	.long	0                               ; 0x0
	.long	0                               ; 0x0
	.long	0                               ; 0x0
	;; [unrolled: 4-line block ×3, first 2 shown]
	.long	65030280                        ; 0x3e04888
	.long	0                               ; 0x0
	.long	0                               ; 0x0
	.long	0                               ; 0x0
	.long	130060560                       ; 0x7c09110
	.long	0                               ; 0x0
	.long	0                               ; 0x0
	.long	0                               ; 0x0
	.long	260121121                       ; 0xf812221
	;; [unrolled: 4-line block ×3, first 2 shown]
	.long	0                               ; 0x0
	.long	0                               ; 0x0
	.long	0                               ; 0x0
	.long	1040484486                      ; 0x3e048886
	.long	0                               ; 0x0
	.long	0                               ; 0x0
	.long	0                               ; 0x0
	.long	2080968972                      ; 0x7c09110c
	;; [unrolled: 4-line block ×7, first 2 shown]
	.long	0                               ; 0x0
	.long	0                               ; 0x0
	;; [unrolled: 1-line block ×3, first 2 shown]
	.long	38028056                        ; 0x2444318
	.long	0                               ; 0x0
	.long	0                               ; 0x0
	;; [unrolled: 1-line block ×3, first 2 shown]
	.long	76056112                        ; 0x4888630
	.long	0                               ; 0x0
	.long	0                               ; 0x0
	.long	0                               ; 0x0
	.long	152112225                       ; 0x9110c61
	.long	0                               ; 0x0
	.long	0                               ; 0x0
	.long	0                               ; 0x0
	.long	304224450                       ; 0x122218c2
	;; [unrolled: 4-line block ×3, first 2 shown]
	.long	0                               ; 0x0
	.long	0                               ; 0x0
	;; [unrolled: 1-line block ×3, first 2 shown]
	.long	1216897803                      ; 0x4888630b
	.long	0                               ; 0x0
	.long	0                               ; 0x0
	;; [unrolled: 1-line block ×3, first 2 shown]
	.long	2433795606                      ; 0x9110c616
	.long	0                               ; 0x0
	.long	0                               ; 0x0
	;; [unrolled: 1-line block ×3, first 2 shown]
	.long	572623917                       ; 0x22218c2d
	.long	0                               ; 0x0
	.long	0                               ; 0x0
	;; [unrolled: 1-line block ×3, first 2 shown]
	.long	1145247834                      ; 0x4443185a
	.long	0                               ; 0x0
	.long	0                               ; 0x0
	;; [unrolled: 1-line block ×3, first 2 shown]
	.long	2290495669                      ; 0x888630b5
	.long	0                               ; 0x0
	.long	0                               ; 0x0
	;; [unrolled: 1-line block ×3, first 2 shown]
	.long	286024042                       ; 0x110c616a
	.long	0                               ; 0x0
	.long	0                               ; 0x0
	;; [unrolled: 1-line block ×3, first 2 shown]
	.long	572048085                       ; 0x2218c2d5
	.long	0                               ; 0x0
	.long	0                               ; 0x0
	;; [unrolled: 1-line block ×3, first 2 shown]
	.long	1144096170                      ; 0x443185aa
	.long	0                               ; 0x0
	.long	0                               ; 0x0
	;; [unrolled: 1-line block ×3, first 2 shown]
	.long	673120836                       ; 0x281f0244
	.long	0                               ; 0x0
	.long	0                               ; 0x0
	;; [unrolled: 1-line block ×3, first 2 shown]
	.long	1346241672                      ; 0x503e0488
	.long	0                               ; 0x0
	.long	0                               ; 0x0
	;; [unrolled: 1-line block ×20, first 2 shown]
	.long	302254233                       ; 0x12040899
	.long	0                               ; 0x0
	.long	0                               ; 0x0
	;; [unrolled: 1-line block ×3, first 2 shown]
	.long	604508466                       ; 0x24081132
	.long	0                               ; 0x0
	.long	0                               ; 0x0
	;; [unrolled: 1-line block ×3, first 2 shown]
	.long	1209016932                      ; 0x48102264
	.long	0                               ; 0x0
	.long	0                               ; 0x0
	;; [unrolled: 1-line block ×3, first 2 shown]
	.long	2418033865                      ; 0x902044c9
	.long	0                               ; 0x0
	.long	0                               ; 0x0
	;; [unrolled: 1-line block ×3, first 2 shown]
	.long	541100435                       ; 0x20408993
	.long	0                               ; 0x0
	.long	0                               ; 0x0
	;; [unrolled: 1-line block ×3, first 2 shown]
	.long	1082200870                      ; 0x40811326
	.long	0                               ; 0x0
	.long	0                               ; 0x0
	.long	0                               ; 0x0
	.long	2164401740                      ; 0x8102264c
	.long	0                               ; 0x0
	.long	0                               ; 0x0
	;; [unrolled: 1-line block ×3, first 2 shown]
	.long	33836184                        ; 0x2044c98
	.long	0                               ; 0x0
	.long	0                               ; 0x0
	;; [unrolled: 1-line block ×3, first 2 shown]
	.long	67672369                        ; 0x4089931
	.long	0                               ; 0x0
	.long	0                               ; 0x0
	.long	0                               ; 0x0
	.long	135344738                       ; 0x8113262
	.long	0                               ; 0x0
	.long	0                               ; 0x0
	.long	0                               ; 0x0
	.long	270689477                       ; 0x102264c5
	;; [unrolled: 4-line block ×3, first 2 shown]
	.long	0                               ; 0x0
	.long	0                               ; 0x0
	;; [unrolled: 1-line block ×3, first 2 shown]
	.long	1082757911                      ; 0x40899317
	.long	0                               ; 0x0
	.long	0                               ; 0x0
	;; [unrolled: 1-line block ×3, first 2 shown]
	.long	2165515822                      ; 0x8113262e
	.long	0                               ; 0x0
	.long	0                               ; 0x0
	;; [unrolled: 1-line block ×3, first 2 shown]
	.long	36064348                        ; 0x2264c5c
	.long	0                               ; 0x0
	.long	0                               ; 0x0
	;; [unrolled: 1-line block ×3, first 2 shown]
	.long	373854240                       ; 0x16489020
	.long	0                               ; 0x0
	.long	0                               ; 0x0
	;; [unrolled: 1-line block ×3, first 2 shown]
	.long	747708480                       ; 0x2c912040
	.long	0                               ; 0x0
	.long	0                               ; 0x0
	.long	0                               ; 0x0
	.long	1495416961                      ; 0x59224081
	.long	0                               ; 0x0
	.long	0                               ; 0x0
	.long	0                               ; 0x0
	.long	2990833922                      ; 0xb2448102
	;; [unrolled: 4-line block ×5, first 2 shown]
	.long	0                               ; 0x0
	.long	0                               ; 0x0
	;; [unrolled: 1-line block ×3, first 2 shown]
	.long	608702498                       ; 0x24481022
	.long	0                               ; 0x0
	.long	0                               ; 0x0
	.long	0                               ; 0x0
	.long	1217404996                      ; 0x48902044
	.long	0                               ; 0x0
	.long	0                               ; 0x0
	;; [unrolled: 1-line block ×3, first 2 shown]
	.long	2434809993                      ; 0x91204089
	.long	0                               ; 0x0
	.long	0                               ; 0x0
	;; [unrolled: 1-line block ×3, first 2 shown]
	.long	574652691                       ; 0x22408113
	.long	0                               ; 0x0
	.long	0                               ; 0x0
	;; [unrolled: 1-line block ×3, first 2 shown]
	.long	1149305382                      ; 0x44810226
	.long	0                               ; 0x0
	.long	0                               ; 0x0
	;; [unrolled: 1-line block ×3, first 2 shown]
	.long	2298610764                      ; 0x8902044c
	.long	0                               ; 0x0
	.long	0                               ; 0x0
	;; [unrolled: 1-line block ×32, first 2 shown]
	.long	3961969350                      ; 0xec26dac6
	.long	0                               ; 0x0
	.long	0                               ; 0x0
	.long	0                               ; 0x0
	.long	3628971405                      ; 0xd84db58d
	.long	0                               ; 0x0
	.long	0                               ; 0x0
	.long	0                               ; 0x0
	.long	2962975514                      ; 0xb09b6b1a
	.long	0                               ; 0x0
	.long	0                               ; 0x0
	.long	0                               ; 0x0
	.long	1630983732                      ; 0x6136d634
	.long	0                               ; 0x0
	.long	0                               ; 0x0
	.long	0                               ; 0x0
	.long	3261967464                      ; 0xc26dac68
	.long	0                               ; 0x0
	.long	0                               ; 0x0
	.long	0                               ; 0x0
	.long	2228967633                      ; 0x84db58d1
	.long	0                               ; 0x0
	.long	0                               ; 0x0
	.long	0                               ; 0x0
	.long	162967970                       ; 0x9b6b1a2
	.long	0                               ; 0x0
	.long	0                               ; 0x0
	.long	0                               ; 0x0
	.long	325935940                       ; 0x136d6344
	.long	0                               ; 0x0
	.long	0                               ; 0x0
	.long	0                               ; 0x0
	;; [unrolled: 4-line block ×3, first 2 shown]
	.long	1303743760                      ; 0x4db58d10
	.long	0                               ; 0x0
	.long	0                               ; 0x0
	;; [unrolled: 1-line block ×3, first 2 shown]
	.long	2607487520                      ; 0x9b6b1a20
	.long	0                               ; 0x0
	.long	0                               ; 0x0
	;; [unrolled: 1-line block ×3, first 2 shown]
	.long	920007744                       ; 0x36d63440
	.long	0                               ; 0x0
	.long	0                               ; 0x0
	.long	0                               ; 0x0
	.long	1840015488                      ; 0x6dac6880
	.long	0                               ; 0x0
	.long	0                               ; 0x0
	.long	0                               ; 0x0
	.long	3680030976                      ; 0xdb58d100
	.long	0                               ; 0x0
	.long	0                               ; 0x0
	.long	0                               ; 0x0
	.long	3065094657                      ; 0xb6b1a201
	.long	0                               ; 0x0
	.long	0                               ; 0x0
	.long	0                               ; 0x0
	.long	1835222019                      ; 0x6d634403
	.long	0                               ; 0x0
	.long	0                               ; 0x0
	.long	0                               ; 0x0
	.long	3670444038                      ; 0xdac68806
	.long	0                               ; 0x0
	.long	0                               ; 0x0
	.long	0                               ; 0x0
	.long	3045920780                      ; 0xb58d100c
	.long	0                               ; 0x0
	.long	0                               ; 0x0
	.long	0                               ; 0x0
	.long	1796874265                      ; 0x6b1a2019
	.long	0                               ; 0x0
	.long	0                               ; 0x0
	.long	0                               ; 0x0
	.long	3593748531                      ; 0xd6344033
	.long	0                               ; 0x0
	.long	0                               ; 0x0
	.long	0                               ; 0x0
	.long	2892529767                      ; 0xac688067
	.long	0                               ; 0x0
	.long	0                               ; 0x0
	.long	0                               ; 0x0
	.long	1490092239                      ; 0x58d100cf
	.long	0                               ; 0x0
	.long	0                               ; 0x0
	.long	0                               ; 0x0
	.long	1568987992                      ; 0x5d84db58
	.long	0                               ; 0x0
	.long	0                               ; 0x0
	.long	0                               ; 0x0
	.long	3137975985                      ; 0xbb09b6b1
	.long	0                               ; 0x0
	.long	0                               ; 0x0
	.long	0                               ; 0x0
	.long	1980984675                      ; 0x76136d63
	.long	0                               ; 0x0
	.long	0                               ; 0x0
	;; [unrolled: 1-line block ×4, first 2 shown]
	.long	3824344628                      ; 0xe3f2de34
	.long	0                               ; 0x0
	.long	0                               ; 0x0
	.long	0                               ; 0x0
	.long	3353721960                      ; 0xc7e5bc68
	.long	0                               ; 0x0
	.long	0                               ; 0x0
	.long	0                               ; 0x0
	;; [unrolled: 4-line block ×3, first 2 shown]
	.long	529985953                       ; 0x1f96f1a1
	.long	0                               ; 0x0
	.long	0                               ; 0x0
	.long	0                               ; 0x0
	.long	1059971907                      ; 0x3f2de343
	.long	0                               ; 0x0
	.long	0                               ; 0x0
	.long	0                               ; 0x0
	.long	2119943815                      ; 0x7e5bc687
	;; [unrolled: 4-line block ×8, first 2 shown]
	.long	0                               ; 0x0
	.long	0                               ; 0x0
	;; [unrolled: 1-line block ×3, first 2 shown]
	.long	769868776                       ; 0x2de343e8
	.long	0                               ; 0x0
	.long	0                               ; 0x0
	.long	0                               ; 0x0
	.long	1539737553                      ; 0x5bc687d1
	.long	0                               ; 0x0
	.long	0                               ; 0x0
	.long	0                               ; 0x0
	.long	3079475106                      ; 0xb78d0fa2
	;; [unrolled: 4-line block ×10, first 2 shown]
	.long	0                               ; 0x0
	.long	0                               ; 0x0
	;; [unrolled: 1-line block ×3, first 2 shown]
	.long	438256979                       ; 0x1a1f4553
	.long	0                               ; 0x0
	.long	0                               ; 0x0
	.long	0                               ; 0x0
	.long	876513958                       ; 0x343e8aa6
	.long	0                               ; 0x0
	.long	0                               ; 0x0
	;; [unrolled: 1-line block ×3, first 2 shown]
	.long	2341456760                      ; 0x8b8fcb78
	.long	0                               ; 0x0
	.long	0                               ; 0x0
	;; [unrolled: 1-line block ×3, first 2 shown]
	.long	387946225                       ; 0x171f96f1
	.long	0                               ; 0x0
	.long	0                               ; 0x0
	;; [unrolled: 1-line block ×3, first 2 shown]
	.long	775892451                       ; 0x2e3f2de3
	.long	0                               ; 0x0
	.long	0                               ; 0x0
	.long	0                               ; 0x0
	.long	1551784902                      ; 0x5c7e5bc6
	.long	0                               ; 0x0
	.long	0                               ; 0x0
	.long	0                               ; 0x0
	.long	3103569805                      ; 0xb8fcb78d
	;; [unrolled: 4-line block ×3, first 2 shown]
	.long	0                               ; 0x0
	.long	0                               ; 0x0
	;; [unrolled: 1-line block ×16, first 2 shown]
	.long	1473249760                      ; 0x57d001e0
	.long	0                               ; 0x0
	.long	0                               ; 0x0
	.long	0                               ; 0x0
	.long	2946499520                      ; 0xafa003c0
	.long	0                               ; 0x0
	.long	0                               ; 0x0
	.long	0                               ; 0x0
	;; [unrolled: 4-line block ×12, first 2 shown]
	.long	1967176                         ; 0x1e0448
	.long	0                               ; 0x0
	.long	0                               ; 0x0
	.long	0                               ; 0x0
	.long	3934352                         ; 0x3c0890
	.long	0                               ; 0x0
	.long	0                               ; 0x0
	.long	0                               ; 0x0
	;; [unrolled: 4-line block ×3, first 2 shown]
	.long	15737408                        ; 0xf02240
	.long	0                               ; 0x0
	.long	0                               ; 0x0
	.long	0                               ; 0x0
	.long	31474816                        ; 0x1e04480
	.long	0                               ; 0x0
	.long	0                               ; 0x0
	.long	0                               ; 0x0
	;; [unrolled: 4-line block ×3, first 2 shown]
	.long	125899264                       ; 0x7811200
	.long	0                               ; 0x0
	.long	0                               ; 0x0
	.long	0                               ; 0x0
	.long	251798529                       ; 0xf022401
	.long	0                               ; 0x0
	.long	0                               ; 0x0
	.long	0                               ; 0x0
	;; [unrolled: 4-line block ×3, first 2 shown]
	.long	1007194118                      ; 0x3c089006
	.long	0                               ; 0x0
	.long	0                               ; 0x0
	.long	0                               ; 0x0
	.long	2014388236                      ; 0x7811200c
	.long	0                               ; 0x0
	.long	0                               ; 0x0
	.long	0                               ; 0x0
	;; [unrolled: 4-line block ×8, first 2 shown]
	.long	0                               ; 0x0
	.long	0                               ; 0x0
	;; [unrolled: 1-line block ×17, first 2 shown]
	.long	536903683                       ; 0x20008003
	.long	0                               ; 0x0
	.long	0                               ; 0x0
	.long	0                               ; 0x0
	.long	1073807366                      ; 0x40010006
	.long	0                               ; 0x0
	.long	0                               ; 0x0
	;; [unrolled: 1-line block ×3, first 2 shown]
	.long	2147614732                      ; 0x8002000c
	.long	0                               ; 0x0
	.long	0                               ; 0x0
	.long	0                               ; 0x0
	.long	262168                          ; 0x40018
	.long	0                               ; 0x0
	.long	0                               ; 0x0
	;; [unrolled: 1-line block ×3, first 2 shown]
	.long	524336                          ; 0x80030
	.long	0                               ; 0x0
	.long	0                               ; 0x0
	.long	0                               ; 0x0
	.long	1048672                         ; 0x100060
	.long	0                               ; 0x0
	.long	0                               ; 0x0
	.long	0                               ; 0x0
	.long	2097344                         ; 0x2000c0
	;; [unrolled: 4-line block ×4, first 2 shown]
	.long	0                               ; 0x0
	.long	0                               ; 0x0
	.long	0                               ; 0x0
	.long	16778752                        ; 0x1000600
	.long	0                               ; 0x0
	.long	0                               ; 0x0
	.long	0                               ; 0x0
	.long	33557504                        ; 0x2000c00
	;; [unrolled: 4-line block ×3, first 2 shown]
	.long	0                               ; 0x0
	.long	0                               ; 0x0
	.long	0                               ; 0x0
	.long	134230016                       ; 0x8003000
	.long	0                               ; 0x0
	.long	0                               ; 0x0
	.long	0                               ; 0x0
	.long	268460033                       ; 0x10006001
	;; [unrolled: 4-line block ×3, first 2 shown]
	.long	0                               ; 0x0
	.long	0                               ; 0x0
	.long	0                               ; 0x0
	.long	1610678276                      ; 0x60010004
	.long	0                               ; 0x0
	.long	0                               ; 0x0
	.long	0                               ; 0x0
	.long	3221356552                      ; 0xc0020008
	;; [unrolled: 4-line block ×3, first 2 shown]
	.long	0                               ; 0x0
	.long	0                               ; 0x0
	;; [unrolled: 1-line block ×3, first 2 shown]
	.long	524320                          ; 0x80020
	.long	0                               ; 0x0
	.long	0                               ; 0x0
	.long	0                               ; 0x0
	.long	1048640                         ; 0x100040
	.long	0                               ; 0x0
	.long	0                               ; 0x0
	.long	0                               ; 0x0
	.long	2097280                         ; 0x200080
	;; [unrolled: 4-line block ×4, first 2 shown]
	.long	0                               ; 0x0
	.long	0                               ; 0x0
	.long	0                               ; 0x0
	.long	16778240                        ; 0x1000400
	.long	0                               ; 0x0
	.long	0                               ; 0x0
	.long	0                               ; 0x0
	.long	33556480                        ; 0x2000800
	.long	0                               ; 0x0
	.long	0                               ; 0x0
	.long	0                               ; 0x0
	.long	67112960                        ; 0x4001000
	.long	0                               ; 0x0
	.long	0                               ; 0x0
	;; [unrolled: 1-line block ×3, first 2 shown]
	.long	134225920                       ; 0x8002000
	.long	0                               ; 0x0
	.long	0                               ; 0x0
	;; [unrolled: 1-line block ×3, first 2 shown]
	.long	268451841                       ; 0x10004001
	.long	0                               ; 0x0
	.long	0                               ; 0x0
	;; [unrolled: 1-line block ×32, first 2 shown]
	.long	3548126500                      ; 0xd37c1d24
	.long	0                               ; 0x0
	.long	0                               ; 0x0
	.long	0                               ; 0x0
	.long	2801285704                      ; 0xa6f83a48
	.long	0                               ; 0x0
	.long	0                               ; 0x0
	.long	0                               ; 0x0
	;; [unrolled: 4-line block ×4, first 2 shown]
	.long	935449156                       ; 0x37c1d244
	.long	0                               ; 0x0
	.long	0                               ; 0x0
	.long	0                               ; 0x0
	.long	1870898313                      ; 0x6f83a489
	.long	0                               ; 0x0
	.long	0                               ; 0x0
	.long	0                               ; 0x0
	.long	3741796627                      ; 0xdf074913
	;; [unrolled: 4-line block ×9, first 2 shown]
	.long	0                               ; 0x0
	.long	0                               ; 0x0
	.long	0                               ; 0x0
	.long	122229662                       ; 0x749139e
	.long	0                               ; 0x0
	.long	0                               ; 0x0
	.long	0                               ; 0x0
	.long	244459325                       ; 0xe92273d
	;; [unrolled: 4-line block ×4, first 2 shown]
	.long	0                               ; 0x0
	.long	0                               ; 0x0
	.long	0                               ; 0x0
	.long	1955674600                      ; 0x749139e8
	.long	0                               ; 0x0
	.long	0                               ; 0x0
	.long	0                               ; 0x0
	.long	3911349200                      ; 0xe92273d0
	;; [unrolled: 4-line block ×5, first 2 shown]
	.long	0                               ; 0x0
	.long	0                               ; 0x0
	;; [unrolled: 1-line block ×3, first 2 shown]
	.long	887031625                       ; 0x34df0749
	.long	0                               ; 0x0
	.long	0                               ; 0x0
	;; [unrolled: 1-line block ×3, first 2 shown]
	.long	1774063250                      ; 0x69be0e92
	.long	0                               ; 0x0
	.long	0                               ; 0x0
	;; [unrolled: 1-line block ×4, first 2 shown]
	.long	1099834596                      ; 0x418e24e4
	.long	0                               ; 0x0
	.long	0                               ; 0x0
	;; [unrolled: 1-line block ×3, first 2 shown]
	.long	2199669192                      ; 0x831c49c8
	.long	0                               ; 0x0
	.long	0                               ; 0x0
	.long	0                               ; 0x0
	.long	104371089                       ; 0x6389391
	.long	0                               ; 0x0
	.long	0                               ; 0x0
	.long	0                               ; 0x0
	.long	208742178                       ; 0xc712722
	;; [unrolled: 4-line block ×4, first 2 shown]
	.long	0                               ; 0x0
	.long	0                               ; 0x0
	.long	0                               ; 0x0
	.long	1669937425                      ; 0x63893911
	.long	0                               ; 0x0
	.long	0                               ; 0x0
	.long	0                               ; 0x0
	.long	3339874850                      ; 0xc7127222
	;; [unrolled: 4-line block ×3, first 2 shown]
	.long	0                               ; 0x0
	.long	0                               ; 0x0
	;; [unrolled: 1-line block ×3, first 2 shown]
	.long	474597512                       ; 0x1c49c888
	.long	0                               ; 0x0
	.long	0                               ; 0x0
	;; [unrolled: 1-line block ×3, first 2 shown]
	.long	949195024                       ; 0x38939110
	.long	0                               ; 0x0
	.long	0                               ; 0x0
	.long	0                               ; 0x0
	.long	1898390048                      ; 0x71272220
	.long	0                               ; 0x0
	.long	0                               ; 0x0
	.long	0                               ; 0x0
	.long	3796780096                      ; 0xe24e4440
	.long	0                               ; 0x0
	.long	0                               ; 0x0
	.long	0                               ; 0x0
	.long	3298592897                      ; 0xc49c8881
	.long	0                               ; 0x0
	.long	0                               ; 0x0
	.long	0                               ; 0x0
	.long	2302218499                      ; 0x89391103
	.long	0                               ; 0x0
	.long	0                               ; 0x0
	.long	0                               ; 0x0
	.long	309469703                       ; 0x12722207
	.long	0                               ; 0x0
	.long	0                               ; 0x0
	.long	0                               ; 0x0
	.long	618939406                       ; 0x24e4440e
	.long	0                               ; 0x0
	.long	0                               ; 0x0
	.long	0                               ; 0x0
	.long	1237878812                      ; 0x49c8881c
	.long	0                               ; 0x0
	.long	0                               ; 0x0
	.long	0                               ; 0x0
	.long	2475757624                      ; 0x93911038
	.long	0                               ; 0x0
	.long	0                               ; 0x0
	.long	0                               ; 0x0
	.long	656547953                       ; 0x27222071
	.long	0                               ; 0x0
	.long	0                               ; 0x0
	.long	0                               ; 0x0
	.long	1313095907                      ; 0x4e4440e3
	.long	0                               ; 0x0
	.long	0                               ; 0x0
	.long	0                               ; 0x0
	.long	2626191815                      ; 0x9c8881c7
	;; [unrolled: 12-line block ×3, first 2 shown]
	.long	0                               ; 0x0
	.long	0                               ; 0x0
	;; [unrolled: 1-line block ×3, first 2 shown]
	.long	2298886291                      ; 0x89063893
	.long	0                               ; 0x0
	.long	0                               ; 0x0
	;; [unrolled: 1-line block ×3, first 2 shown]
	.long	302805287                       ; 0x120c7127
	.long	0                               ; 0x0
	.long	0                               ; 0x0
	;; [unrolled: 1-line block ×3, first 2 shown]
	.long	605610574                       ; 0x2418e24e
	.long	0                               ; 0x0
	.long	0                               ; 0x0
	;; [unrolled: 1-line block ×3, first 2 shown]
	.long	1211221148                      ; 0x4831c49c
	.long	0                               ; 0x0
	.long	0                               ; 0x0
	;; [unrolled: 1-line block ×3, first 2 shown]
	.long	2422442297                      ; 0x90638939
	.long	0                               ; 0x0
	.long	0                               ; 0x0
	;; [unrolled: 1-line block ×3, first 2 shown]
	.long	549917298                       ; 0x20c71272
	.long	0                               ; 0x0
	.long	0                               ; 0x0
	;; [unrolled: 1-line block ×16, first 2 shown]
	.long	1442838528                      ; 0x55fff800
	.long	0                               ; 0x0
	.long	0                               ; 0x0
	.long	0                               ; 0x0
	.long	2885677056                      ; 0xabfff000
	.long	0                               ; 0x0
	.long	0                               ; 0x0
	.long	0                               ; 0x0
	;; [unrolled: 4-line block ×21, first 2 shown]
	.long	131096                          ; 0x20018
	.long	0                               ; 0x0
	.long	0                               ; 0x0
	.long	0                               ; 0x0
	.long	262192                          ; 0x40030
	.long	0                               ; 0x0
	.long	0                               ; 0x0
	.long	0                               ; 0x0
	.long	524384                          ; 0x80060
	.long	0                               ; 0x0
	.long	0                               ; 0x0
	.long	0                               ; 0x0
	.long	1048768                         ; 0x1000c0
	.long	0                               ; 0x0
	.long	0                               ; 0x0
	.long	0                               ; 0x0
	.long	2097536                         ; 0x200180
	.long	0                               ; 0x0
	.long	0                               ; 0x0
	.long	0                               ; 0x0
	.long	4195072                         ; 0x400300
	.long	0                               ; 0x0
	.long	0                               ; 0x0
	.long	0                               ; 0x0
	.long	1434451456                      ; 0x557ffe00
	.long	0                               ; 0x0
	.long	0                               ; 0x0
	;; [unrolled: 1-line block ×3, first 2 shown]
	.long	2868902912                      ; 0xaafffc00
	.long	0                               ; 0x0
	.long	0                               ; 0x0
	;; [unrolled: 1-line block ×20, first 2 shown]
	.long	262152                          ; 0x40008
	.long	0                               ; 0x0
	.long	0                               ; 0x0
	.long	0                               ; 0x0
	.long	524304                          ; 0x80010
	.long	0                               ; 0x0
	.long	0                               ; 0x0
	.long	0                               ; 0x0
	.long	1048608                         ; 0x100020
	.long	0                               ; 0x0
	.long	0                               ; 0x0
	.long	0                               ; 0x0
	.long	2097216                         ; 0x200040
	;; [unrolled: 4-line block ×4, first 2 shown]
	.long	0                               ; 0x0
	.long	0                               ; 0x0
	.long	0                               ; 0x0
	.long	16777728                        ; 0x1000200
	.long	0                               ; 0x0
	.long	0                               ; 0x0
	.long	0                               ; 0x0
	.long	33555456                        ; 0x2000400
	;; [unrolled: 4-line block ×3, first 2 shown]
	.long	0                               ; 0x0
	.long	0                               ; 0x0
	.long	0                               ; 0x0
	.long	134221824                       ; 0x8001000
	.long	0                               ; 0x0
	.long	0                               ; 0x0
	.long	0                               ; 0x0
	.long	268443649                       ; 0x10002001
	;; [unrolled: 4-line block ×3, first 2 shown]
	.long	0                               ; 0x0
	.long	0                               ; 0x0
	;; [unrolled: 1-line block ×3, first 2 shown]
	.long	1073774597                      ; 0x40008005
	.long	0                               ; 0x0
	.long	0                               ; 0x0
	;; [unrolled: 1-line block ×3, first 2 shown]
	.long	2147549194                      ; 0x8001000a
	.long	0                               ; 0x0
	.long	0                               ; 0x0
	;; [unrolled: 1-line block ×3, first 2 shown]
	.long	131092                          ; 0x20014
	.long	0                               ; 0x0
	.long	0                               ; 0x0
	;; [unrolled: 1-line block ×3, first 2 shown]
	.long	32                              ; 0x20
	.long	0                               ; 0x0
	.long	0                               ; 0x0
	;; [unrolled: 1-line block ×3, first 2 shown]
	.long	64                              ; 0x40
	.long	0                               ; 0x0
	.long	0                               ; 0x0
	.long	0                               ; 0x0
	.long	128                             ; 0x80
	.long	0                               ; 0x0
	.long	0                               ; 0x0
	.long	0                               ; 0x0
	.long	256                             ; 0x100
	;; [unrolled: 4-line block ×3, first 2 shown]
	.long	0                               ; 0x0
	.long	0                               ; 0x0
	.long	0                               ; 0x0
	.long	1024                            ; 0x400
	.long	0                               ; 0x0
	.long	0                               ; 0x0
	.long	0                               ; 0x0
	.long	2048                            ; 0x800
	;; [unrolled: 4-line block ×4, first 2 shown]
	.long	0                               ; 0x0
	.long	0                               ; 0x0
	.long	0                               ; 0x0
	.long	16384                           ; 0x4000
	.long	0                               ; 0x0
	.long	0                               ; 0x0
	.long	0                               ; 0x0
	.long	32769                           ; 0x8001
	;; [unrolled: 4-line block ×3, first 2 shown]
	.long	0                               ; 0x0
	.long	0                               ; 0x0
	;; [unrolled: 1-line block ×3, first 2 shown]
	.long	131076                          ; 0x20004
	.long	0                               ; 0x0
	.long	0                               ; 0x0
	;; [unrolled: 1-line block ×32, first 2 shown]
	.long	357270623                       ; 0x154b845f
	.long	0                               ; 0x0
	.long	0                               ; 0x0
	;; [unrolled: 1-line block ×3, first 2 shown]
	.long	714541247                       ; 0x2a9708bf
	.long	0                               ; 0x0
	.long	0                               ; 0x0
	.long	0                               ; 0x0
	.long	1429082494                      ; 0x552e117e
	.long	0                               ; 0x0
	.long	0                               ; 0x0
	.long	0                               ; 0x0
	.long	2858164988                      ; 0xaa5c22fc
	;; [unrolled: 4-line block ×8, first 2 shown]
	.long	0                               ; 0x0
	.long	0                               ; 0x0
	;; [unrolled: 1-line block ×3, first 2 shown]
	.long	772898351                       ; 0x2e117e2f
	.long	0                               ; 0x0
	.long	0                               ; 0x0
	.long	0                               ; 0x0
	.long	1545796702                      ; 0x5c22fc5e
	.long	0                               ; 0x0
	.long	0                               ; 0x0
	.long	0                               ; 0x0
	.long	3091593405                      ; 0xb845f8bd
	;; [unrolled: 4-line block ×6, first 2 shown]
	.long	0                               ; 0x0
	.long	0                               ; 0x0
	.long	0                               ; 0x0
	.long	146741158                       ; 0x8bf17a6
	.long	0                               ; 0x0
	.long	0                               ; 0x0
	.long	0                               ; 0x0
	.long	293482317                       ; 0x117e2f4d
	;; [unrolled: 4-line block ×3, first 2 shown]
	.long	0                               ; 0x0
	.long	0                               ; 0x0
	;; [unrolled: 1-line block ×3, first 2 shown]
	.long	1173929269                      ; 0x45f8bd35
	.long	0                               ; 0x0
	.long	0                               ; 0x0
	;; [unrolled: 1-line block ×3, first 2 shown]
	.long	2347858538                      ; 0x8bf17a6a
	.long	0                               ; 0x0
	.long	0                               ; 0x0
	;; [unrolled: 1-line block ×3, first 2 shown]
	.long	44658827                        ; 0x2a9708b
	.long	0                               ; 0x0
	.long	0                               ; 0x0
	;; [unrolled: 1-line block ×3, first 2 shown]
	.long	89317655                        ; 0x552e117
	.long	0                               ; 0x0
	.long	0                               ; 0x0
	;; [unrolled: 1-line block ×3, first 2 shown]
	.long	178635311                       ; 0xaa5c22f
	.long	0                               ; 0x0
	.long	0                               ; 0x0
	.long	0                               ; 0x0
	.long	0                               ; 0x0
	.long	3400190380                      ; 0xcaaac9ac
	.long	0                               ; 0x0
	.long	0                               ; 0x0
	;; [unrolled: 1-line block ×3, first 2 shown]
	.long	2505413465                      ; 0x95559359
	.long	0                               ; 0x0
	.long	0                               ; 0x0
	;; [unrolled: 1-line block ×3, first 2 shown]
	.long	715859635                       ; 0x2aab26b3
	.long	0                               ; 0x0
	.long	0                               ; 0x0
	.long	0                               ; 0x0
	.long	1431719270                      ; 0x55564d66
	.long	0                               ; 0x0
	.long	0                               ; 0x0
	.long	0                               ; 0x0
	.long	2863438540                      ; 0xaaac9acc
	;; [unrolled: 4-line block ×15, first 2 shown]
	.long	0                               ; 0x0
	.long	0                               ; 0x0
	;; [unrolled: 1-line block ×3, first 2 shown]
	.long	649265349                       ; 0x26b300c5
	.long	0                               ; 0x0
	.long	0                               ; 0x0
	.long	0                               ; 0x0
	.long	1298530698                      ; 0x4d66018a
	.long	0                               ; 0x0
	.long	0                               ; 0x0
	.long	0                               ; 0x0
	.long	2597061396                      ; 0x9acc0314
	.long	0                               ; 0x0
	.long	0                               ; 0x0
	;; [unrolled: 1-line block ×3, first 2 shown]
	.long	899155496                       ; 0x35980628
	.long	0                               ; 0x0
	.long	0                               ; 0x0
	.long	0                               ; 0x0
	.long	1798310993                      ; 0x6b300c51
	.long	0                               ; 0x0
	.long	0                               ; 0x0
	.long	0                               ; 0x0
	.long	3596621986                      ; 0xd66018a2
	;; [unrolled: 4-line block ×4, first 2 shown]
	.long	0                               ; 0x0
	.long	0                               ; 0x0
	;; [unrolled: 1-line block ×3, first 2 shown]
	.long	643126861                       ; 0x2655564d
	.long	0                               ; 0x0
	.long	0                               ; 0x0
	;; [unrolled: 1-line block ×3, first 2 shown]
	.long	1286253722                      ; 0x4caaac9a
	.long	0                               ; 0x0
	.long	0                               ; 0x0
	;; [unrolled: 1-line block ×3, first 2 shown]
	.long	2572507445                      ; 0x99555935
	.long	0                               ; 0x0
	.long	0                               ; 0x0
	;; [unrolled: 1-line block ×3, first 2 shown]
	.long	850047595                       ; 0x32aab26b
	.long	0                               ; 0x0
	.long	0                               ; 0x0
	;; [unrolled: 1-line block ×3, first 2 shown]
	.long	1700095190                      ; 0x655564d6
	.long	0                               ; 0x0
	.long	0                               ; 0x0
	;; [unrolled: 1-line block ×16, first 2 shown]
	.long	16                              ; 0x10
	.long	0                               ; 0x0
	.long	0                               ; 0x0
	.long	0                               ; 0x0
	.long	32                              ; 0x20
	.long	0                               ; 0x0
	.long	0                               ; 0x0
	.long	0                               ; 0x0
	;; [unrolled: 4-line block ×3, first 2 shown]
	.long	128                             ; 0x80
	.long	0                               ; 0x0
	.long	0                               ; 0x0
	.long	0                               ; 0x0
	.long	256                             ; 0x100
	.long	0                               ; 0x0
	.long	0                               ; 0x0
	.long	0                               ; 0x0
	;; [unrolled: 4-line block ×3, first 2 shown]
	.long	1024                            ; 0x400
	.long	0                               ; 0x0
	.long	0                               ; 0x0
	.long	0                               ; 0x0
	.long	2048                            ; 0x800
	.long	0                               ; 0x0
	.long	0                               ; 0x0
	.long	0                               ; 0x0
	;; [unrolled: 4-line block ×4, first 2 shown]
	.long	16384                           ; 0x4000
	.long	0                               ; 0x0
	.long	0                               ; 0x0
	.long	0                               ; 0x0
	.long	32768                           ; 0x8000
	.long	0                               ; 0x0
	.long	0                               ; 0x0
	.long	0                               ; 0x0
	;; [unrolled: 4-line block ×3, first 2 shown]
	.long	131072                          ; 0x20000
	.long	0                               ; 0x0
	.long	0                               ; 0x0
	.long	0                               ; 0x0
	.long	262144                          ; 0x40000
	.long	0                               ; 0x0
	.long	0                               ; 0x0
	.long	0                               ; 0x0
	;; [unrolled: 4-line block ×3, first 2 shown]
	.long	1048576                         ; 0x100000
	.long	0                               ; 0x0
	.long	0                               ; 0x0
	.long	0                               ; 0x0
	.long	2097152                         ; 0x200000
	.long	0                               ; 0x0
	.long	0                               ; 0x0
	.long	0                               ; 0x0
	;; [unrolled: 4-line block ×4, first 2 shown]
	.long	16777216                        ; 0x1000000
	.long	0                               ; 0x0
	.long	0                               ; 0x0
	.long	0                               ; 0x0
	.long	33554432                        ; 0x2000000
	.long	0                               ; 0x0
	.long	0                               ; 0x0
	.long	0                               ; 0x0
	;; [unrolled: 4-line block ×3, first 2 shown]
	.long	134217729                       ; 0x8000001
	.long	0                               ; 0x0
	.long	0                               ; 0x0
	.long	0                               ; 0x0
	.long	268435458                       ; 0x10000002
	.long	0                               ; 0x0
	.long	0                               ; 0x0
	.long	0                               ; 0x0
	;; [unrolled: 4-line block ×3, first 2 shown]
	.long	1073741834                      ; 0x4000000a
	.long	0                               ; 0x0
	.long	0                               ; 0x0
	;; [unrolled: 1-line block ×3, first 2 shown]
	.long	2147483652                      ; 0x80000004
	.long	0                               ; 0x0
	.long	0                               ; 0x0
	;; [unrolled: 1-line block ×24, first 2 shown]
	.long	1073774613                      ; 0x40008015
	.long	0                               ; 0x0
	.long	0                               ; 0x0
	;; [unrolled: 1-line block ×3, first 2 shown]
	.long	2147549226                      ; 0x8001002a
	.long	0                               ; 0x0
	.long	0                               ; 0x0
	.long	0                               ; 0x0
	.long	131156                          ; 0x20054
	.long	0                               ; 0x0
	.long	0                               ; 0x0
	.long	0                               ; 0x0
	.long	262312                          ; 0x400a8
	;; [unrolled: 4-line block ×3, first 2 shown]
	.long	0                               ; 0x0
	.long	0                               ; 0x0
	.long	0                               ; 0x0
	.long	1049248                         ; 0x1002a0
	.long	0                               ; 0x0
	.long	0                               ; 0x0
	.long	0                               ; 0x0
	.long	2098496                         ; 0x200540
	;; [unrolled: 4-line block ×4, first 2 shown]
	.long	0                               ; 0x0
	.long	0                               ; 0x0
	.long	0                               ; 0x0
	.long	16787968                        ; 0x1002a00
	.long	0                               ; 0x0
	.long	0                               ; 0x0
	.long	0                               ; 0x0
	.long	33575936                        ; 0x2005400
	;; [unrolled: 4-line block ×3, first 2 shown]
	.long	0                               ; 0x0
	.long	0                               ; 0x0
	.long	0                               ; 0x0
	.long	134303746                       ; 0x8015002
	.long	0                               ; 0x0
	.long	0                               ; 0x0
	.long	0                               ; 0x0
	.long	268607492                       ; 0x1002a004
	;; [unrolled: 4-line block ×3, first 2 shown]
	.long	0                               ; 0x0
	.long	0                               ; 0x0
	;; [unrolled: 1-line block ×3, first 2 shown]
	.long	655364                          ; 0xa0004
	.long	0                               ; 0x0
	.long	0                               ; 0x0
	.long	0                               ; 0x0
	.long	1310728                         ; 0x140008
	.long	0                               ; 0x0
	.long	0                               ; 0x0
	.long	0                               ; 0x0
	.long	2621456                         ; 0x280010
	;; [unrolled: 4-line block ×3, first 2 shown]
	.long	0                               ; 0x0
	.long	0                               ; 0x0
	.long	0                               ; 0x0
	.long	10485824                        ; 0xa00040
	.long	0                               ; 0x0
	.long	0                               ; 0x0
	.long	0                               ; 0x0
	.long	20971648                        ; 0x1400080
	.long	0                               ; 0x0
	.long	0                               ; 0x0
	.long	0                               ; 0x0
	.long	41943296                        ; 0x2800100
	.long	0                               ; 0x0
	.long	0                               ; 0x0
	.long	0                               ; 0x0
	.long	83886592                        ; 0x5000200
	.long	0                               ; 0x0
	.long	0                               ; 0x0
	.long	0                               ; 0x0
	.long	167773184                       ; 0xa000400
	.long	0                               ; 0x0
	.long	0                               ; 0x0
	.long	0                               ; 0x0
	.long	335546369                       ; 0x14000801
	;; [unrolled: 4-line block ×3, first 2 shown]
	.long	0                               ; 0x0
	.long	0                               ; 0x0
	;; [unrolled: 1-line block ×3, first 2 shown]
	.long	1342185477                      ; 0x50002005
	.long	0                               ; 0x0
	.long	0                               ; 0x0
	;; [unrolled: 1-line block ×3, first 2 shown]
	.long	2684370954                      ; 0xa000400a
	.long	0                               ; 0x0
	.long	0                               ; 0x0
	;; [unrolled: 1-line block ×32, first 2 shown]
	.long	3265725291                      ; 0xc2a7036b
	.long	0                               ; 0x0
	.long	0                               ; 0x0
	.long	0                               ; 0x0
	.long	2236483287                      ; 0x854e06d7
	.long	0                               ; 0x0
	.long	0                               ; 0x0
	.long	0                               ; 0x0
	.long	177999279                       ; 0xa9c0daf
	.long	0                               ; 0x0
	.long	0                               ; 0x0
	.long	0                               ; 0x0
	.long	355998558                       ; 0x15381b5e
	;; [unrolled: 4-line block ×3, first 2 shown]
	.long	0                               ; 0x0
	.long	0                               ; 0x0
	.long	0                               ; 0x0
	.long	1423994233                      ; 0x54e06d79
	.long	0                               ; 0x0
	.long	0                               ; 0x0
	.long	0                               ; 0x0
	.long	2847988467                      ; 0xa9c0daf3
	.long	0                               ; 0x0
	.long	0                               ; 0x0
	.long	0                               ; 0x0
	.long	1401009639                      ; 0x5381b5e7
	.long	0                               ; 0x0
	.long	0                               ; 0x0
	.long	0                               ; 0x0
	.long	2802019279                      ; 0xa7036bcf
	.long	0                               ; 0x0
	.long	0                               ; 0x0
	.long	0                               ; 0x0
	.long	1309071263                      ; 0x4e06d79f
	.long	0                               ; 0x0
	.long	0                               ; 0x0
	.long	0                               ; 0x0
	.long	2618142526                      ; 0x9c0daf3e
	.long	0                               ; 0x0
	.long	0                               ; 0x0
	;; [unrolled: 1-line block ×3, first 2 shown]
	.long	941317756                       ; 0x381b5e7c
	.long	0                               ; 0x0
	.long	0                               ; 0x0
	.long	0                               ; 0x0
	.long	1882635512                      ; 0x7036bcf8
	.long	0                               ; 0x0
	.long	0                               ; 0x0
	.long	0                               ; 0x0
	.long	3765271025                      ; 0xe06d79f1
	;; [unrolled: 4-line block ×4, first 2 shown]
	.long	0                               ; 0x0
	.long	0                               ; 0x0
	;; [unrolled: 1-line block ×3, first 2 shown]
	.long	57397132                        ; 0x36bcf8c
	.long	0                               ; 0x0
	.long	0                               ; 0x0
	.long	0                               ; 0x0
	.long	114794264                       ; 0x6d79f18
	.long	0                               ; 0x0
	.long	0                               ; 0x0
	.long	0                               ; 0x0
	.long	229588528                       ; 0xdaf3e30
	.long	0                               ; 0x0
	.long	0                               ; 0x0
	.long	0                               ; 0x0
	.long	459177056                       ; 0x1b5e7c60
	.long	0                               ; 0x0
	.long	0                               ; 0x0
	.long	0                               ; 0x0
	.long	918354113                       ; 0x36bcf8c1
	.long	0                               ; 0x0
	.long	0                               ; 0x0
	.long	0                               ; 0x0
	.long	1836708227                      ; 0x6d79f183
	.long	0                               ; 0x0
	.long	0                               ; 0x0
	;; [unrolled: 1-line block ×3, first 2 shown]
	.long	408215661                       ; 0x1854e06d
	.long	0                               ; 0x0
	.long	0                               ; 0x0
	;; [unrolled: 1-line block ×3, first 2 shown]
	.long	816431322                       ; 0x30a9c0da
	.long	0                               ; 0x0
	.long	0                               ; 0x0
	;; [unrolled: 1-line block ×3, first 2 shown]
	.long	1632862645                      ; 0x615381b5
	.long	0                               ; 0x0
	.long	0                               ; 0x0
	.long	0                               ; 0x0
	.long	0                               ; 0x0
	.long	2928597988                      ; 0xae8edbe4
	.long	0                               ; 0x0
	.long	0                               ; 0x0
	.long	0                               ; 0x0
	.long	1562228680                      ; 0x5d1db7c8
	.long	0                               ; 0x0
	.long	0                               ; 0x0
	.long	0                               ; 0x0
	;; [unrolled: 4-line block ×9, first 2 shown]
	.long	498583604                       ; 0x1db7c834
	.long	0                               ; 0x0
	.long	0                               ; 0x0
	;; [unrolled: 1-line block ×3, first 2 shown]
	.long	997167209                       ; 0x3b6f9069
	.long	0                               ; 0x0
	.long	0                               ; 0x0
	.long	0                               ; 0x0
	.long	1994334419                      ; 0x76df20d3
	.long	0                               ; 0x0
	.long	0                               ; 0x0
	.long	0                               ; 0x0
	.long	3988668839                      ; 0xedbe41a7
	;; [unrolled: 4-line block ×17, first 2 shown]
	.long	0                               ; 0x0
	.long	0                               ; 0x0
	;; [unrolled: 1-line block ×3, first 2 shown]
	.long	902945660                       ; 0x35d1db7c
	.long	0                               ; 0x0
	.long	0                               ; 0x0
	;; [unrolled: 1-line block ×3, first 2 shown]
	.long	1805891321                      ; 0x6ba3b6f9
	.long	0                               ; 0x0
	.long	0                               ; 0x0
	;; [unrolled: 1-line block ×3, first 2 shown]
	.long	3611782642                      ; 0xd7476df2
	.long	0                               ; 0x0
	.long	0                               ; 0x0
	;; [unrolled: 1-line block ×16, first 2 shown]
	.long	128                             ; 0x80
	.long	0                               ; 0x0
	.long	0                               ; 0x0
	.long	0                               ; 0x0
	.long	256                             ; 0x100
	.long	0                               ; 0x0
	.long	0                               ; 0x0
	.long	0                               ; 0x0
	;; [unrolled: 4-line block ×3, first 2 shown]
	.long	1024                            ; 0x400
	.long	0                               ; 0x0
	.long	0                               ; 0x0
	.long	0                               ; 0x0
	.long	2048                            ; 0x800
	.long	0                               ; 0x0
	.long	0                               ; 0x0
	.long	0                               ; 0x0
	;; [unrolled: 4-line block ×4, first 2 shown]
	.long	16384                           ; 0x4000
	.long	0                               ; 0x0
	.long	0                               ; 0x0
	.long	0                               ; 0x0
	.long	32768                           ; 0x8000
	.long	0                               ; 0x0
	.long	0                               ; 0x0
	.long	0                               ; 0x0
	;; [unrolled: 4-line block ×3, first 2 shown]
	.long	131072                          ; 0x20000
	.long	0                               ; 0x0
	.long	0                               ; 0x0
	.long	0                               ; 0x0
	.long	262144                          ; 0x40000
	.long	0                               ; 0x0
	.long	0                               ; 0x0
	.long	0                               ; 0x0
	;; [unrolled: 4-line block ×3, first 2 shown]
	.long	1048576                         ; 0x100000
	.long	0                               ; 0x0
	.long	0                               ; 0x0
	.long	0                               ; 0x0
	.long	2097152                         ; 0x200000
	.long	0                               ; 0x0
	.long	0                               ; 0x0
	.long	0                               ; 0x0
	;; [unrolled: 4-line block ×4, first 2 shown]
	.long	16777216                        ; 0x1000000
	.long	0                               ; 0x0
	.long	0                               ; 0x0
	.long	0                               ; 0x0
	.long	33554432                        ; 0x2000000
	.long	0                               ; 0x0
	.long	0                               ; 0x0
	.long	0                               ; 0x0
	;; [unrolled: 4-line block ×3, first 2 shown]
	.long	134217729                       ; 0x8000001
	.long	0                               ; 0x0
	.long	0                               ; 0x0
	.long	0                               ; 0x0
	.long	268435458                       ; 0x10000002
	.long	0                               ; 0x0
	.long	0                               ; 0x0
	.long	0                               ; 0x0
	;; [unrolled: 4-line block ×3, first 2 shown]
	.long	1073741834                      ; 0x4000000a
	.long	0                               ; 0x0
	.long	0                               ; 0x0
	;; [unrolled: 1-line block ×3, first 2 shown]
	.long	2147483668                      ; 0x80000014
	.long	0                               ; 0x0
	.long	0                               ; 0x0
	.long	0                               ; 0x0
	.long	40                              ; 0x28
	.long	0                               ; 0x0
	.long	0                               ; 0x0
	.long	0                               ; 0x0
	.long	80                              ; 0x50
	;; [unrolled: 4-line block ×4, first 2 shown]
	.long	0                               ; 0x0
	.long	0                               ; 0x0
	;; [unrolled: 1-line block ×20, first 2 shown]
	.long	18087960                        ; 0x1140018
	.long	0                               ; 0x0
	.long	0                               ; 0x0
	.long	0                               ; 0x0
	.long	36175920                        ; 0x2280030
	.long	0                               ; 0x0
	.long	0                               ; 0x0
	.long	0                               ; 0x0
	;; [unrolled: 4-line block ×3, first 2 shown]
	.long	144703680                       ; 0x8a000c0
	.long	0                               ; 0x0
	.long	0                               ; 0x0
	.long	0                               ; 0x0
	.long	289407361                       ; 0x11400181
	.long	0                               ; 0x0
	.long	0                               ; 0x0
	.long	0                               ; 0x0
	;; [unrolled: 4-line block ×3, first 2 shown]
	.long	1157629444                      ; 0x45000604
	.long	0                               ; 0x0
	.long	0                               ; 0x0
	;; [unrolled: 1-line block ×3, first 2 shown]
	.long	2315258888                      ; 0x8a000c08
	.long	0                               ; 0x0
	.long	0                               ; 0x0
	;; [unrolled: 1-line block ×3, first 2 shown]
	.long	335550481                       ; 0x14001811
	.long	0                               ; 0x0
	.long	0                               ; 0x0
	;; [unrolled: 1-line block ×3, first 2 shown]
	.long	671100962                       ; 0x28003022
	.long	0                               ; 0x0
	.long	0                               ; 0x0
	.long	0                               ; 0x0
	.long	1342201925                      ; 0x50006045
	.long	0                               ; 0x0
	.long	0                               ; 0x0
	.long	0                               ; 0x0
	.long	2684403851                      ; 0xa000c08b
	;; [unrolled: 4-line block ×4, first 2 shown]
	.long	0                               ; 0x0
	.long	0                               ; 0x0
	;; [unrolled: 1-line block ×3, first 2 shown]
	.long	394332                          ; 0x6045c
	.long	0                               ; 0x0
	.long	0                               ; 0x0
	.long	0                               ; 0x0
	.long	18352288                        ; 0x11808a0
	.long	0                               ; 0x0
	.long	0                               ; 0x0
	.long	0                               ; 0x0
	.long	36704576                        ; 0x2301140
	;; [unrolled: 4-line block ×3, first 2 shown]
	.long	0                               ; 0x0
	.long	0                               ; 0x0
	.long	0                               ; 0x0
	.long	146818304                       ; 0x8c04500
	.long	0                               ; 0x0
	.long	0                               ; 0x0
	.long	0                               ; 0x0
	.long	293636608                       ; 0x11808a00
	;; [unrolled: 4-line block ×3, first 2 shown]
	.long	0                               ; 0x0
	.long	0                               ; 0x0
	;; [unrolled: 1-line block ×3, first 2 shown]
	.long	1174546432                      ; 0x46022800
	.long	0                               ; 0x0
	.long	0                               ; 0x0
	;; [unrolled: 1-line block ×3, first 2 shown]
	.long	2349092864                      ; 0x8c045000
	.long	0                               ; 0x0
	.long	0                               ; 0x0
	;; [unrolled: 1-line block ×3, first 2 shown]
	.long	403218432                       ; 0x1808a000
	.long	0                               ; 0x0
	.long	0                               ; 0x0
	;; [unrolled: 1-line block ×3, first 2 shown]
	.long	806436865                       ; 0x30114001
	.long	0                               ; 0x0
	.long	0                               ; 0x0
	.long	0                               ; 0x0
	.long	1612873731                      ; 0x60228003
	.long	0                               ; 0x0
	.long	0                               ; 0x0
	.long	0                               ; 0x0
	.long	3225747462                      ; 0xc0450006
	;; [unrolled: 4-line block ×3, first 2 shown]
	.long	0                               ; 0x0
	.long	0                               ; 0x0
	;; [unrolled: 1-line block ×32, first 2 shown]
	.long	3612118070                      ; 0xd74c8c36
	.long	0                               ; 0x0
	.long	0                               ; 0x0
	.long	0                               ; 0x0
	.long	2929268845                      ; 0xae99186d
	.long	0                               ; 0x0
	.long	0                               ; 0x0
	.long	0                               ; 0x0
	;; [unrolled: 4-line block ×10, first 2 shown]
	.long	842062417                       ; 0x3230da51
	.long	0                               ; 0x0
	.long	0                               ; 0x0
	.long	0                               ; 0x0
	.long	1684124835                      ; 0x6461b4a3
	.long	0                               ; 0x0
	.long	0                               ; 0x0
	.long	0                               ; 0x0
	.long	3368249671                      ; 0xc8c36947
	;; [unrolled: 4-line block ×3, first 2 shown]
	.long	0                               ; 0x0
	.long	0                               ; 0x0
	;; [unrolled: 1-line block ×3, first 2 shown]
	.long	588096797                       ; 0x230da51d
	.long	0                               ; 0x0
	.long	0                               ; 0x0
	;; [unrolled: 1-line block ×3, first 2 shown]
	.long	1176193595                      ; 0x461b4a3b
	.long	0                               ; 0x0
	.long	0                               ; 0x0
	;; [unrolled: 1-line block ×3, first 2 shown]
	.long	2352387190                      ; 0x8c369476
	.long	0                               ; 0x0
	.long	0                               ; 0x0
	;; [unrolled: 1-line block ×3, first 2 shown]
	.long	409807085                       ; 0x186d28ed
	.long	0                               ; 0x0
	.long	0                               ; 0x0
	.long	0                               ; 0x0
	.long	819614171                       ; 0x30da51db
	.long	0                               ; 0x0
	.long	0                               ; 0x0
	.long	0                               ; 0x0
	.long	1639228342                      ; 0x61b4a3b6
	.long	0                               ; 0x0
	.long	0                               ; 0x0
	.long	0                               ; 0x0
	.long	3278456684                      ; 0xc369476c
	;; [unrolled: 4-line block ×6, first 2 shown]
	.size	_ZL32d_lfsr113_sequence_jump_matrices, 65536

	.type	__hip_cuid_84ad2c226574a8ca,@object ; @__hip_cuid_84ad2c226574a8ca
	.section	.bss,"aw",@nobits
	.globl	__hip_cuid_84ad2c226574a8ca
__hip_cuid_84ad2c226574a8ca:
	.byte	0                               ; 0x0
	.size	__hip_cuid_84ad2c226574a8ca, 1

	.ident	"AMD clang version 19.0.0git (https://github.com/RadeonOpenCompute/llvm-project roc-6.4.0 25133 c7fe45cf4b819c5991fe208aaa96edf142730f1d)"
	.section	".note.GNU-stack","",@progbits
	.addrsig
	.addrsig_sym __hip_cuid_84ad2c226574a8ca
	.amdgpu_metadata
---
amdhsa.kernels:
  - .args:
      - .address_space:  global
        .offset:         0
        .size:           8
        .value_kind:     global_buffer
      - .offset:         8
        .size:           8
        .value_kind:     by_value
      - .offset:         16
        .size:           8
        .value_kind:     by_value
      - .offset:         24
        .size:           8
        .value_kind:     by_value
      - .offset:         32
        .size:           4
        .value_kind:     hidden_block_count_x
      - .offset:         36
        .size:           4
        .value_kind:     hidden_block_count_y
      - .offset:         40
        .size:           4
        .value_kind:     hidden_block_count_z
      - .offset:         44
        .size:           2
        .value_kind:     hidden_group_size_x
      - .offset:         46
        .size:           2
        .value_kind:     hidden_group_size_y
      - .offset:         48
        .size:           2
        .value_kind:     hidden_group_size_z
      - .offset:         50
        .size:           2
        .value_kind:     hidden_remainder_x
      - .offset:         52
        .size:           2
        .value_kind:     hidden_remainder_y
      - .offset:         54
        .size:           2
        .value_kind:     hidden_remainder_z
      - .offset:         72
        .size:           8
        .value_kind:     hidden_global_offset_x
      - .offset:         80
        .size:           8
        .value_kind:     hidden_global_offset_y
      - .offset:         88
        .size:           8
        .value_kind:     hidden_global_offset_z
      - .offset:         96
        .size:           2
        .value_kind:     hidden_grid_dims
    .group_segment_fixed_size: 49152
    .kernarg_segment_align: 8
    .kernarg_segment_size: 288
    .language:       OpenCL C
    .language_version:
      - 2
      - 0
    .max_flat_workgroup_size: 1024
    .name:           _Z14rocrand_kernelIN14rocrand_device13xorwow_engineEEvPjmyy
    .private_segment_fixed_size: 0
    .sgpr_count:     48
    .sgpr_spill_count: 0
    .symbol:         _Z14rocrand_kernelIN14rocrand_device13xorwow_engineEEvPjmyy.kd
    .uniform_work_group_size: 1
    .uses_dynamic_stack: false
    .vgpr_count:     33
    .vgpr_spill_count: 0
    .wavefront_size: 32
    .workgroup_processor_mode: 1
  - .args:
      - .address_space:  global
        .offset:         0
        .size:           8
        .value_kind:     global_buffer
      - .address_space:  global
        .offset:         8
        .size:           8
        .value_kind:     global_buffer
      - .offset:         16
        .size:           8
        .value_kind:     by_value
      - .offset:         24
        .size:           4
        .value_kind:     hidden_block_count_x
      - .offset:         28
        .size:           4
        .value_kind:     hidden_block_count_y
      - .offset:         32
        .size:           4
        .value_kind:     hidden_block_count_z
      - .offset:         36
        .size:           2
        .value_kind:     hidden_group_size_x
      - .offset:         38
        .size:           2
        .value_kind:     hidden_group_size_y
      - .offset:         40
        .size:           2
        .value_kind:     hidden_group_size_z
      - .offset:         42
        .size:           2
        .value_kind:     hidden_remainder_x
      - .offset:         44
        .size:           2
        .value_kind:     hidden_remainder_y
      - .offset:         46
        .size:           2
        .value_kind:     hidden_remainder_z
      - .offset:         64
        .size:           8
        .value_kind:     hidden_global_offset_x
      - .offset:         72
        .size:           8
        .value_kind:     hidden_global_offset_y
      - .offset:         80
        .size:           8
        .value_kind:     hidden_global_offset_z
      - .offset:         88
        .size:           2
        .value_kind:     hidden_grid_dims
    .group_segment_fixed_size: 4312
    .kernarg_segment_align: 8
    .kernarg_segment_size: 280
    .language:       OpenCL C
    .language_version:
      - 2
      - 0
    .max_flat_workgroup_size: 1024
    .name:           _Z21mtgp32_rocrand_kernelIN14rocrand_device13mtgp32_engineEEvPT_Pjm
    .private_segment_fixed_size: 0
    .sgpr_count:     25
    .sgpr_spill_count: 0
    .symbol:         _Z21mtgp32_rocrand_kernelIN14rocrand_device13mtgp32_engineEEvPT_Pjm.kd
    .uniform_work_group_size: 1
    .uses_dynamic_stack: false
    .vgpr_count:     22
    .vgpr_spill_count: 0
    .wavefront_size: 32
    .workgroup_processor_mode: 1
  - .args:
      - .address_space:  global
        .offset:         0
        .size:           8
        .value_kind:     global_buffer
      - .offset:         8
        .size:           8
        .value_kind:     by_value
      - .offset:         16
        .size:           16
        .value_kind:     by_value
      - .offset:         32
        .size:           4
        .value_kind:     hidden_block_count_x
      - .offset:         36
        .size:           4
        .value_kind:     hidden_block_count_y
      - .offset:         40
        .size:           4
        .value_kind:     hidden_block_count_z
      - .offset:         44
        .size:           2
        .value_kind:     hidden_group_size_x
      - .offset:         46
        .size:           2
        .value_kind:     hidden_group_size_y
      - .offset:         48
        .size:           2
        .value_kind:     hidden_group_size_z
      - .offset:         50
        .size:           2
        .value_kind:     hidden_remainder_x
      - .offset:         52
        .size:           2
        .value_kind:     hidden_remainder_y
      - .offset:         54
        .size:           2
        .value_kind:     hidden_remainder_z
      - .offset:         72
        .size:           8
        .value_kind:     hidden_global_offset_x
      - .offset:         80
        .size:           8
        .value_kind:     hidden_global_offset_y
      - .offset:         88
        .size:           8
        .value_kind:     hidden_global_offset_z
      - .offset:         96
        .size:           2
        .value_kind:     hidden_grid_dims
    .group_segment_fixed_size: 0
    .kernarg_segment_align: 16
    .kernarg_segment_size: 288
    .language:       OpenCL C
    .language_version:
      - 2
      - 0
    .max_flat_workgroup_size: 1024
    .name:           _Z22lfsr113_rocrand_kernelIN14rocrand_device14lfsr113_engineEEvPjm15HIP_vector_typeIjLj4EE
    .private_segment_fixed_size: 0
    .sgpr_count:     38
    .sgpr_spill_count: 0
    .symbol:         _Z22lfsr113_rocrand_kernelIN14rocrand_device14lfsr113_engineEEvPjm15HIP_vector_typeIjLj4EE.kd
    .uniform_work_group_size: 1
    .uses_dynamic_stack: false
    .vgpr_count:     30
    .vgpr_spill_count: 0
    .wavefront_size: 32
    .workgroup_processor_mode: 1
amdhsa.target:   amdgcn-amd-amdhsa--gfx1100
amdhsa.version:
  - 1
  - 2
...

	.end_amdgpu_metadata
